;; amdgpu-corpus repo=ROCm/rocFFT kind=compiled arch=gfx1030 opt=O3
	.text
	.amdgcn_target "amdgcn-amd-amdhsa--gfx1030"
	.amdhsa_code_object_version 6
	.protected	bluestein_single_fwd_len351_dim1_dp_op_CI_CI ; -- Begin function bluestein_single_fwd_len351_dim1_dp_op_CI_CI
	.globl	bluestein_single_fwd_len351_dim1_dp_op_CI_CI
	.p2align	8
	.type	bluestein_single_fwd_len351_dim1_dp_op_CI_CI,@function
bluestein_single_fwd_len351_dim1_dp_op_CI_CI: ; @bluestein_single_fwd_len351_dim1_dp_op_CI_CI
; %bb.0:
	s_load_dwordx4 s[0:3], s[4:5], 0x28
	v_mul_u32_u24_e32 v1, 0x691, v0
	v_lshrrev_b32_e32 v1, 16, v1
	v_mad_u64_u32 v[108:109], null, s6, 3, v[1:2]
	v_mov_b32_e32 v109, 0
                                        ; kill: def $vgpr2 killed $sgpr0 killed $exec
	s_waitcnt lgkmcnt(0)
	v_cmp_gt_u64_e32 vcc_lo, s[0:1], v[108:109]
	s_and_saveexec_b32 s0, vcc_lo
	s_cbranch_execz .LBB0_15
; %bb.1:
	v_mul_hi_u32 v2, 0xaaaaaaab, v108
	s_clause 0x1
	s_load_dwordx2 s[14:15], s[4:5], 0x0
	s_load_dwordx2 s[12:13], s[4:5], 0x38
	v_mul_lo_u16 v1, v1, 39
	v_sub_nc_u16 v0, v0, v1
	v_lshrrev_b32_e32 v2, 1, v2
	v_and_b32_e32 v213, 0xffff, v0
	v_lshl_add_u32 v2, v2, 1, v2
	v_cmp_gt_u16_e32 vcc_lo, 27, v0
	v_lshlrev_b32_e32 v214, 4, v213
	v_sub_nc_u32_e32 v1, v108, v2
	v_mul_u32_u24_e32 v217, 0x15f, v1
	v_lshlrev_b32_e32 v215, 4, v217
	s_and_saveexec_b32 s1, vcc_lo
	s_cbranch_execz .LBB0_3
; %bb.2:
	s_load_dwordx2 s[6:7], s[4:5], 0x18
	s_waitcnt lgkmcnt(0)
	v_add_co_u32 v25, s0, s14, v214
	v_add_co_ci_u32_e64 v26, null, s15, 0, s0
	v_add_co_u32 v36, s0, 0x800, v25
	v_add_co_ci_u32_e64 v37, s0, 0, v26, s0
	v_add_co_u32 v96, s0, 0x1000, v25
	v_add_co_ci_u32_e64 v97, s0, 0, v26, s0
	s_load_dwordx4 s[8:11], s[6:7], 0x0
	s_clause 0x3
	global_load_dwordx4 v[0:3], v214, s[14:15]
	global_load_dwordx4 v[4:7], v214, s[14:15] offset:432
	global_load_dwordx4 v[8:11], v214, s[14:15] offset:864
	;; [unrolled: 1-line block ×3, first 2 shown]
	s_waitcnt lgkmcnt(0)
	v_mad_u64_u32 v[20:21], null, s10, v108, 0
	v_mad_u64_u32 v[28:29], null, s8, v213, 0
	s_mul_i32 s6, s9, 0x1b0
	s_mul_hi_u32 s7, s8, 0x1b0
	s_add_i32 s7, s7, s6
	v_mov_b32_e32 v16, v21
	v_mov_b32_e32 v21, v29
	v_mad_u64_u32 v[22:23], null, s11, v108, v[16:17]
	global_load_dwordx4 v[16:19], v214, s[14:15] offset:1728
	v_mad_u64_u32 v[23:24], null, s9, v213, v[21:22]
	v_mov_b32_e32 v21, v22
	v_lshlrev_b64 v[30:31], 4, v[20:21]
	v_mov_b32_e32 v29, v23
	s_clause 0x1
	global_load_dwordx4 v[20:23], v[36:37], off offset:112
	global_load_dwordx4 v[24:27], v[36:37], off offset:544
	v_add_co_u32 v30, s0, s2, v30
	v_lshlrev_b64 v[28:29], 4, v[28:29]
	v_add_co_ci_u32_e64 v31, s0, s3, v31, s0
	s_mul_i32 s2, s8, 0x1b0
	v_add_co_u32 v40, s0, v30, v28
	v_add_co_ci_u32_e64 v41, s0, v31, v29, s0
	s_clause 0x1
	global_load_dwordx4 v[28:31], v[36:37], off offset:976
	global_load_dwordx4 v[32:35], v[36:37], off offset:1408
	v_add_co_u32 v44, s0, v40, s2
	v_add_co_ci_u32_e64 v45, s0, s7, v41, s0
	global_load_dwordx4 v[36:39], v[36:37], off offset:1840
	v_add_co_u32 v48, s0, v44, s2
	v_add_co_ci_u32_e64 v49, s0, s7, v45, s0
	s_clause 0x1
	global_load_dwordx4 v[40:43], v[40:41], off
	global_load_dwordx4 v[44:47], v[44:45], off
	v_add_co_u32 v52, s0, v48, s2
	v_add_co_ci_u32_e64 v53, s0, s7, v49, s0
	v_add_co_u32 v56, s0, v52, s2
	v_add_co_ci_u32_e64 v57, s0, s7, v53, s0
	s_clause 0x1
	global_load_dwordx4 v[48:51], v[48:49], off
	global_load_dwordx4 v[52:55], v[52:53], off
	v_add_co_u32 v60, s0, v56, s2
	v_add_co_ci_u32_e64 v61, s0, s7, v57, s0
	global_load_dwordx4 v[56:59], v[56:57], off
	v_add_co_u32 v64, s0, v60, s2
	v_add_co_ci_u32_e64 v65, s0, s7, v61, s0
	;; [unrolled: 3-line block ×8, first 2 shown]
	s_clause 0x1
	global_load_dwordx4 v[84:87], v[96:97], off offset:224
	global_load_dwordx4 v[88:91], v[96:97], off offset:656
	global_load_dwordx4 v[92:95], v[92:93], off
	global_load_dwordx4 v[96:99], v[96:97], off offset:1088
	global_load_dwordx4 v[100:103], v[100:101], off
	s_waitcnt vmcnt(15)
	v_mul_f64 v[104:105], v[42:43], v[2:3]
	v_mul_f64 v[2:3], v[40:41], v[2:3]
	s_waitcnt vmcnt(14)
	v_mul_f64 v[106:107], v[46:47], v[6:7]
	v_mul_f64 v[6:7], v[44:45], v[6:7]
	;; [unrolled: 3-line block ×5, first 2 shown]
	v_fma_f64 v[40:41], v[40:41], v[0:1], v[104:105]
	s_waitcnt vmcnt(10)
	v_mul_f64 v[104:105], v[62:63], v[22:23]
	v_mul_f64 v[22:23], v[60:61], v[22:23]
	v_fma_f64 v[42:43], v[42:43], v[0:1], -v[2:3]
	v_fma_f64 v[0:1], v[44:45], v[4:5], v[106:107]
	s_waitcnt vmcnt(9)
	v_mul_f64 v[44:45], v[66:67], v[26:27]
	v_mul_f64 v[26:27], v[64:65], v[26:27]
	v_fma_f64 v[2:3], v[46:47], v[4:5], -v[6:7]
	s_waitcnt vmcnt(8)
	v_mul_f64 v[46:47], v[70:71], v[30:31]
	v_mul_f64 v[30:31], v[68:69], v[30:31]
	v_fma_f64 v[4:5], v[48:49], v[8:9], v[109:110]
	v_fma_f64 v[6:7], v[50:51], v[8:9], -v[10:11]
	v_fma_f64 v[8:9], v[52:53], v[12:13], v[111:112]
	s_waitcnt vmcnt(7)
	v_mul_f64 v[106:107], v[74:75], v[34:35]
	v_mul_f64 v[34:35], v[72:73], v[34:35]
	v_fma_f64 v[10:11], v[54:55], v[12:13], -v[14:15]
	v_fma_f64 v[12:13], v[56:57], v[16:17], v[113:114]
	v_fma_f64 v[14:15], v[58:59], v[16:17], -v[18:19]
	s_waitcnt vmcnt(6)
	v_mul_f64 v[115:116], v[78:79], v[38:39]
	v_mul_f64 v[38:39], v[76:77], v[38:39]
	v_lshl_add_u32 v52, v213, 4, v215
	v_add_nc_u32_e32 v53, v215, v214
	v_fma_f64 v[16:17], v[60:61], v[20:21], v[104:105]
	v_fma_f64 v[18:19], v[62:63], v[20:21], -v[22:23]
	s_waitcnt vmcnt(4)
	v_mul_f64 v[117:118], v[82:83], v[86:87]
	v_mul_f64 v[86:87], v[80:81], v[86:87]
	s_waitcnt vmcnt(2)
	v_mul_f64 v[119:120], v[94:95], v[90:91]
	v_mul_f64 v[90:91], v[92:93], v[90:91]
	;; [unrolled: 3-line block ×3, first 2 shown]
	v_fma_f64 v[20:21], v[64:65], v[24:25], v[44:45]
	v_fma_f64 v[22:23], v[66:67], v[24:25], -v[26:27]
	v_fma_f64 v[24:25], v[68:69], v[28:29], v[46:47]
	v_fma_f64 v[26:27], v[70:71], v[28:29], -v[30:31]
	;; [unrolled: 2-line block ×7, first 2 shown]
	ds_write_b128 v52, v[40:43]
	ds_write_b128 v53, v[0:3] offset:432
	ds_write_b128 v53, v[4:7] offset:864
	;; [unrolled: 1-line block ×12, first 2 shown]
.LBB0_3:
	s_or_b32 exec_lo, exec_lo, s1
	s_clause 0x1
	s_load_dwordx2 s[2:3], s[4:5], 0x20
	s_load_dwordx2 s[0:1], s[4:5], 0x8
	s_waitcnt lgkmcnt(0)
	s_barrier
	buffer_gl0_inv
                                        ; implicit-def: $vgpr16_vgpr17
                                        ; implicit-def: $vgpr44_vgpr45
                                        ; implicit-def: $vgpr48_vgpr49
                                        ; implicit-def: $vgpr52_vgpr53
                                        ; implicit-def: $vgpr64_vgpr65
                                        ; implicit-def: $vgpr60_vgpr61
                                        ; implicit-def: $vgpr56_vgpr57
                                        ; implicit-def: $vgpr40_vgpr41
                                        ; implicit-def: $vgpr36_vgpr37
                                        ; implicit-def: $vgpr32_vgpr33
                                        ; implicit-def: $vgpr28_vgpr29
                                        ; implicit-def: $vgpr24_vgpr25
                                        ; implicit-def: $vgpr20_vgpr21
	s_and_saveexec_b32 s4, vcc_lo
	s_cbranch_execz .LBB0_5
; %bb.4:
	v_lshl_add_u32 v0, v217, 4, v214
	ds_read_b128 v[16:19], v0
	ds_read_b128 v[44:47], v0 offset:432
	ds_read_b128 v[48:51], v0 offset:864
	;; [unrolled: 1-line block ×12, first 2 shown]
.LBB0_5:
	s_or_b32 exec_lo, exec_lo, s4
	s_waitcnt lgkmcnt(0)
	v_add_f64 v[96:97], v[46:47], -v[22:23]
	v_add_f64 v[102:103], v[44:45], -v[20:21]
	s_mov_b32 s4, 0x4267c47c
	s_mov_b32 s5, 0xbfddbe06
	v_add_f64 v[94:95], v[44:45], v[20:21]
	v_add_f64 v[98:99], v[46:47], v[22:23]
	v_add_f64 v[72:73], v[50:51], -v[26:27]
	v_add_f64 v[68:69], v[48:49], -v[24:25]
	s_mov_b32 s6, 0xe00740e9
	s_mov_b32 s8, 0x42a4c3d2
	;; [unrolled: 1-line block ×8, first 2 shown]
	v_add_f64 v[70:71], v[48:49], v[24:25]
	v_add_f64 v[76:77], v[50:51], v[26:27]
	v_add_f64 v[74:75], v[52:53], -v[28:29]
	s_mov_b32 s10, 0x1ea71119
	s_mov_b32 s18, 0xebaa3ed8
	;; [unrolled: 1-line block ×3, first 2 shown]
	v_mul_f64 v[111:112], v[96:97], s[4:5]
	v_mul_f64 v[113:114], v[102:103], s[4:5]
	;; [unrolled: 1-line block ×10, first 2 shown]
	s_mov_b32 s36, 0x24c2f84
	s_mov_b32 s24, 0x4bc48dbf
	;; [unrolled: 1-line block ×7, first 2 shown]
	v_add_f64 v[82:83], v[54:55], -v[30:31]
	v_add_f64 v[86:87], v[54:55], v[30:31]
	v_mul_f64 v[159:160], v[74:75], s[16:17]
	v_mul_f64 v[141:142], v[72:73], s[20:21]
	;; [unrolled: 1-line block ×3, first 2 shown]
	v_fma_f64 v[0:1], v[94:95], s[6:7], v[111:112]
	v_fma_f64 v[2:3], v[98:99], s[6:7], -v[113:114]
	v_fma_f64 v[8:9], v[94:95], s[10:11], v[133:134]
	v_fma_f64 v[10:11], v[98:99], s[10:11], -v[139:140]
	v_fma_f64 v[12:13], v[94:95], s[18:19], v[173:174]
	v_mul_f64 v[129:130], v[72:73], s[24:25]
	v_fma_f64 v[4:5], v[70:71], s[10:11], v[115:116]
	v_fma_f64 v[6:7], v[76:77], s[10:11], -v[117:118]
	v_fma_f64 v[14:15], v[98:99], s[18:19], -v[179:180]
	v_mul_f64 v[135:136], v[68:69], s[24:25]
	v_fma_f64 v[119:120], v[94:95], s[22:23], v[201:202]
	v_mul_f64 v[123:124], v[72:73], s[36:37]
	v_fma_f64 v[121:122], v[98:99], s[22:23], -v[205:206]
	v_mul_f64 v[125:126], v[68:69], s[36:37]
	s_mov_b32 s28, 0xd0032e0c
	s_mov_b32 s30, 0x93053d00
	;; [unrolled: 1-line block ×8, first 2 shown]
	v_add_f64 v[0:1], v[16:17], v[0:1]
	v_add_f64 v[2:3], v[18:19], v[2:3]
	;; [unrolled: 1-line block ×3, first 2 shown]
	v_add_f64 v[80:81], v[64:65], -v[32:33]
	v_add_f64 v[90:91], v[66:67], -v[34:35]
	v_mul_f64 v[155:156], v[82:83], s[16:17]
	v_mul_f64 v[153:154], v[82:83], s[24:25]
	;; [unrolled: 1-line block ×3, first 2 shown]
	v_fma_f64 v[151:152], v[86:87], s[18:19], -v[159:160]
	v_fma_f64 v[147:148], v[70:71], s[22:23], v[141:142]
	v_fma_f64 v[161:162], v[76:77], s[22:23], -v[143:144]
	v_add_f64 v[8:9], v[16:17], v[8:9]
	v_add_f64 v[10:11], v[18:19], v[10:11]
	v_mul_f64 v[145:146], v[82:83], s[34:35]
	v_mul_f64 v[149:150], v[74:75], s[34:35]
	v_add_f64 v[119:120], v[16:17], v[119:120]
	v_fma_f64 v[163:164], v[70:71], s[28:29], v[123:124]
	v_add_f64 v[169:170], v[18:19], v[121:122]
	v_fma_f64 v[175:176], v[76:77], s[28:29], -v[125:126]
	v_mul_f64 v[131:132], v[82:83], s[38:39]
	v_mul_f64 v[137:138], v[74:75], s[38:39]
	v_add_f64 v[84:85], v[64:65], v[32:33]
	v_add_f64 v[0:1], v[4:5], v[0:1]
	;; [unrolled: 1-line block ×4, first 2 shown]
	v_fma_f64 v[6:7], v[70:71], s[30:31], v[129:130]
	v_add_f64 v[12:13], v[18:19], v[14:15]
	v_fma_f64 v[14:15], v[76:77], s[30:31], -v[135:136]
	v_add_f64 v[92:93], v[66:67], v[34:35]
	v_add_f64 v[88:89], v[60:61], -v[36:37]
	v_add_f64 v[100:101], v[62:63], -v[38:39]
	v_mul_f64 v[167:168], v[90:91], s[20:21]
	v_mul_f64 v[171:172], v[80:81], s[20:21]
	v_fma_f64 v[127:128], v[78:79], s[18:19], v[155:156]
	v_add_f64 v[8:9], v[147:148], v[8:9]
	v_add_f64 v[10:11], v[161:162], v[10:11]
	v_fma_f64 v[181:182], v[78:79], s[30:31], v[153:154]
	v_fma_f64 v[183:184], v[86:87], s[30:31], -v[157:158]
	v_mul_f64 v[177:178], v[90:91], s[36:37]
	v_mul_f64 v[185:186], v[80:81], s[36:37]
	;; [unrolled: 1-line block ×4, first 2 shown]
	v_add_f64 v[163:164], v[163:164], v[119:120]
	v_add_f64 v[169:170], v[175:176], v[169:170]
	v_fma_f64 v[197:198], v[78:79], s[6:7], v[131:132]
	v_fma_f64 v[203:204], v[86:87], s[6:7], -v[137:138]
	v_mul_f64 v[147:148], v[90:91], s[16:17]
	v_add_f64 v[4:5], v[6:7], v[4:5]
	v_add_f64 v[2:3], v[151:152], v[2:3]
	;; [unrolled: 1-line block ×3, first 2 shown]
	v_fma_f64 v[12:13], v[78:79], s[22:23], v[145:146]
	v_fma_f64 v[14:15], v[86:87], s[22:23], -v[149:150]
	v_mul_f64 v[151:152], v[80:81], s[16:17]
	s_mov_b32 s27, 0xbfe5384d
	s_mov_b32 s26, s36
	;; [unrolled: 1-line block ×6, first 2 shown]
	v_add_f64 v[104:105], v[60:61], v[36:37]
	v_add_f64 v[109:110], v[62:63], v[38:39]
	v_add_f64 v[106:107], v[56:57], -v[40:41]
	v_add_f64 v[121:122], v[58:59], -v[42:43]
	v_mul_f64 v[189:190], v[100:101], s[26:27]
	v_mul_f64 v[193:194], v[88:89], s[26:27]
	v_fma_f64 v[187:188], v[84:85], s[22:23], v[167:168]
	v_fma_f64 v[191:192], v[92:93], s[22:23], -v[171:172]
	v_add_f64 v[0:1], v[127:128], v[0:1]
	v_add_f64 v[8:9], v[181:182], v[8:9]
	;; [unrolled: 1-line block ×3, first 2 shown]
	v_fma_f64 v[181:182], v[84:85], s[28:29], v[177:178]
	v_fma_f64 v[207:208], v[92:93], s[28:29], -v[185:186]
	v_mul_f64 v[195:196], v[100:101], s[40:41]
	v_mul_f64 v[199:200], v[88:89], s[40:41]
	v_add_f64 v[4:5], v[12:13], v[4:5]
	v_add_f64 v[6:7], v[14:15], v[6:7]
	v_fma_f64 v[12:13], v[84:85], s[6:7], v[161:162]
	v_fma_f64 v[14:15], v[92:93], s[6:7], -v[165:166]
	v_mul_f64 v[175:176], v[100:101], s[8:9]
	v_mul_f64 v[183:184], v[88:89], s[8:9]
	v_add_f64 v[218:219], v[197:198], v[163:164]
	v_add_f64 v[220:221], v[203:204], v[169:170]
	v_fma_f64 v[222:223], v[84:85], s[18:19], v[147:148]
	v_fma_f64 v[224:225], v[92:93], s[18:19], -v[151:152]
	v_mul_f64 v[163:164], v[100:101], s[44:45]
	v_mul_f64 v[169:170], v[88:89], s[44:45]
	s_mov_b32 s43, 0x3fea55e2
	s_mov_b32 s42, s8
	v_add_f64 v[119:120], v[56:57], v[40:41]
	v_add_f64 v[127:128], v[58:59], v[42:43]
	v_mul_f64 v[209:210], v[121:122], s[24:25]
	v_mul_f64 v[211:212], v[106:107], s[24:25]
	v_fma_f64 v[226:227], v[104:105], s[28:29], v[189:190]
	v_fma_f64 v[228:229], v[109:110], s[28:29], -v[193:194]
	v_add_f64 v[0:1], v[187:188], v[0:1]
	v_add_f64 v[2:3], v[191:192], v[2:3]
	;; [unrolled: 1-line block ×4, first 2 shown]
	v_fma_f64 v[230:231], v[104:105], s[18:19], v[195:196]
	v_fma_f64 v[232:233], v[109:110], s[18:19], -v[199:200]
	v_mul_f64 v[203:204], v[121:122], s[38:39]
	v_mul_f64 v[207:208], v[106:107], s[38:39]
	v_add_f64 v[4:5], v[12:13], v[4:5]
	v_add_f64 v[6:7], v[14:15], v[6:7]
	v_fma_f64 v[12:13], v[104:105], s[10:11], v[175:176]
	v_fma_f64 v[14:15], v[109:110], s[10:11], -v[183:184]
	v_mul_f64 v[191:192], v[121:122], s[26:27]
	v_mul_f64 v[197:198], v[106:107], s[26:27]
	v_add_f64 v[218:219], v[222:223], v[218:219]
	v_add_f64 v[220:221], v[224:225], v[220:221]
	v_fma_f64 v[222:223], v[104:105], s[30:31], v[163:164]
	v_fma_f64 v[224:225], v[109:110], s[30:31], -v[169:170]
	v_mul_f64 v[181:182], v[121:122], s[42:43]
	v_mul_f64 v[187:188], v[106:107], s[42:43]
	v_fma_f64 v[234:235], v[119:120], s[30:31], v[209:210]
	v_fma_f64 v[236:237], v[127:128], s[30:31], -v[211:212]
	v_add_f64 v[0:1], v[226:227], v[0:1]
	v_add_f64 v[2:3], v[228:229], v[2:3]
	v_mul_lo_u16 v216, v213, 13
	v_add_f64 v[8:9], v[230:231], v[8:9]
	v_add_f64 v[10:11], v[232:233], v[10:11]
	v_fma_f64 v[226:227], v[119:120], s[6:7], v[203:204]
	v_fma_f64 v[228:229], v[127:128], s[6:7], -v[207:208]
	s_barrier
	buffer_gl0_inv
	v_add_f64 v[12:13], v[12:13], v[4:5]
	v_add_f64 v[14:15], v[14:15], v[6:7]
	v_fma_f64 v[230:231], v[119:120], s[28:29], v[191:192]
	v_fma_f64 v[232:233], v[127:128], s[28:29], -v[197:198]
	v_add_f64 v[218:219], v[222:223], v[218:219]
	v_add_f64 v[220:221], v[224:225], v[220:221]
	v_fma_f64 v[222:223], v[119:120], s[10:11], v[181:182]
	v_fma_f64 v[224:225], v[127:128], s[10:11], -v[187:188]
	v_add_f64 v[0:1], v[234:235], v[0:1]
	v_add_f64 v[2:3], v[236:237], v[2:3]
	;; [unrolled: 1-line block ×8, first 2 shown]
	s_and_saveexec_b32 s33, vcc_lo
	s_cbranch_execz .LBB0_7
; %bb.6:
	v_add_f64 v[44:45], v[16:17], v[44:45]
	v_add_f64 v[46:47], v[18:19], v[46:47]
	;; [unrolled: 1-line block ×4, first 2 shown]
	v_mul_f64 v[48:49], v[96:97], s[26:27]
	v_add_f64 v[44:45], v[44:45], v[52:53]
	v_add_f64 v[46:47], v[46:47], v[54:55]
	v_mul_f64 v[54:55], v[94:95], s[6:7]
	v_fma_f64 v[52:53], v[94:95], s[28:29], v[48:49]
	v_fma_f64 v[48:49], v[94:95], s[28:29], -v[48:49]
	v_add_f64 v[44:45], v[44:45], v[64:65]
	v_add_f64 v[46:47], v[46:47], v[66:67]
	v_add_f64 v[54:55], v[54:55], -v[111:112]
	v_add_f64 v[52:53], v[16:17], v[52:53]
	v_add_f64 v[48:49], v[16:17], v[48:49]
	v_mul_f64 v[66:67], v[82:83], s[26:27]
	v_mul_f64 v[111:112], v[127:128], s[18:19]
	v_add_f64 v[44:45], v[44:45], v[60:61]
	v_add_f64 v[46:47], v[46:47], v[62:63]
	;; [unrolled: 1-line block ×6, first 2 shown]
	v_mul_f64 v[44:45], v[98:99], s[6:7]
	v_mul_f64 v[46:47], v[96:97], s[24:25]
	;; [unrolled: 1-line block ×3, first 2 shown]
	v_add_f64 v[36:37], v[40:41], v[36:37]
	v_add_f64 v[38:39], v[42:43], v[38:39]
	v_mul_f64 v[40:41], v[98:99], s[10:11]
	v_mul_f64 v[42:43], v[94:95], s[10:11]
	v_add_f64 v[44:45], v[113:114], v[44:45]
	v_fma_f64 v[50:51], v[94:95], s[30:31], v[46:47]
	v_fma_f64 v[46:47], v[94:95], s[30:31], -v[46:47]
	v_mul_f64 v[113:114], v[121:122], s[40:41]
	v_add_f64 v[32:33], v[36:37], v[32:33]
	v_add_f64 v[34:35], v[38:39], v[34:35]
	v_mul_f64 v[36:37], v[98:99], s[18:19]
	v_mul_f64 v[38:39], v[94:95], s[18:19]
	v_add_f64 v[40:41], v[139:140], v[40:41]
	v_add_f64 v[42:43], v[42:43], -v[133:134]
	v_add_f64 v[50:51], v[16:17], v[50:51]
	v_add_f64 v[46:47], v[16:17], v[46:47]
	v_mul_f64 v[133:134], v[109:110], s[28:29]
	v_add_f64 v[28:29], v[32:33], v[28:29]
	v_add_f64 v[30:31], v[34:35], v[30:31]
	v_mul_f64 v[32:33], v[98:99], s[22:23]
	v_add_f64 v[36:37], v[179:180], v[36:37]
	v_mul_f64 v[34:35], v[94:95], s[22:23]
	v_add_f64 v[38:39], v[38:39], -v[173:174]
	v_mul_f64 v[94:95], v[92:93], s[10:11]
	v_add_f64 v[133:134], v[193:194], v[133:134]
	v_add_f64 v[24:25], v[28:29], v[24:25]
	;; [unrolled: 1-line block ×3, first 2 shown]
	v_mul_f64 v[28:29], v[98:99], s[28:29]
	v_add_f64 v[32:33], v[205:206], v[32:33]
	v_add_f64 v[34:35], v[34:35], -v[201:202]
	v_add_f64 v[20:21], v[24:25], v[20:21]
	v_mul_f64 v[24:25], v[98:99], s[30:31]
	v_add_f64 v[22:23], v[26:27], v[22:23]
	v_fma_f64 v[30:31], v[102:103], s[36:37], v[28:29]
	v_fma_f64 v[28:29], v[102:103], s[26:27], v[28:29]
	v_add_f64 v[62:63], v[18:19], v[32:33]
	v_add_f64 v[32:33], v[18:19], v[36:37]
	;; [unrolled: 1-line block ×3, first 2 shown]
	v_mul_f64 v[54:55], v[72:73], s[38:39]
	v_add_f64 v[64:65], v[16:17], v[34:35]
	v_add_f64 v[34:35], v[16:17], v[38:39]
	v_mul_f64 v[98:99], v[109:110], s[22:23]
	v_mul_f64 v[38:39], v[70:71], s[10:11]
	v_fma_f64 v[26:27], v[102:103], s[44:45], v[24:25]
	v_fma_f64 v[24:25], v[102:103], s[24:25], v[24:25]
	v_add_f64 v[58:59], v[18:19], v[30:31]
	v_add_f64 v[60:61], v[18:19], v[28:29]
	;; [unrolled: 1-line block ×4, first 2 shown]
	v_mul_f64 v[102:103], v[100:101], s[20:21]
	v_mul_f64 v[40:41], v[86:87], s[18:19]
	;; [unrolled: 1-line block ×3, first 2 shown]
	v_add_f64 v[38:39], v[38:39], -v[115:116]
	v_mul_f64 v[115:116], v[92:93], s[22:23]
	v_add_f64 v[26:27], v[18:19], v[26:27]
	v_add_f64 v[56:57], v[18:19], v[24:25]
	;; [unrolled: 1-line block ×3, first 2 shown]
	v_mul_f64 v[44:45], v[76:77], s[6:7]
	v_fma_f64 v[18:19], v[70:71], s[6:7], v[54:55]
	v_fma_f64 v[54:55], v[70:71], s[6:7], -v[54:55]
	v_add_f64 v[40:41], v[159:160], v[40:41]
	v_add_f64 v[42:43], v[42:43], -v[155:156]
	v_add_f64 v[115:116], v[171:172], v[115:116]
	v_fma_f64 v[16:17], v[68:69], s[4:5], v[44:45]
	v_add_f64 v[18:19], v[18:19], v[50:51]
	v_mul_f64 v[50:51], v[86:87], s[28:29]
	v_fma_f64 v[44:45], v[68:69], s[38:39], v[44:45]
	v_add_f64 v[46:47], v[54:55], v[46:47]
	v_fma_f64 v[54:55], v[119:120], s[18:19], -v[113:114]
	v_add_f64 v[16:17], v[16:17], v[26:27]
	v_fma_f64 v[26:27], v[74:75], s[36:37], v[50:51]
	v_add_f64 v[44:45], v[44:45], v[56:57]
	v_fma_f64 v[50:51], v[74:75], s[26:27], v[50:51]
	v_add_f64 v[16:17], v[26:27], v[16:17]
	v_fma_f64 v[26:27], v[78:79], s[28:29], v[66:67]
	v_add_f64 v[44:45], v[50:51], v[44:45]
	v_fma_f64 v[50:51], v[78:79], s[28:29], -v[66:67]
	v_add_f64 v[18:19], v[26:27], v[18:19]
	v_fma_f64 v[26:27], v[80:81], s[8:9], v[94:95]
	v_add_f64 v[46:47], v[50:51], v[46:47]
	v_fma_f64 v[50:51], v[80:81], s[42:43], v[94:95]
	v_add_f64 v[16:17], v[26:27], v[16:17]
	;; [unrolled: 8-line block ×4, first 2 shown]
	v_fma_f64 v[16:17], v[119:120], s[18:19], v[113:114]
	v_add_f64 v[46:47], v[46:47], v[44:45]
	v_add_f64 v[44:45], v[54:55], v[50:51]
	;; [unrolled: 1-line block ×3, first 2 shown]
	v_mul_f64 v[26:27], v[76:77], s[10:11]
	v_add_f64 v[26:27], v[117:118], v[26:27]
	v_mul_f64 v[117:118], v[84:85], s[22:23]
	v_add_f64 v[24:25], v[26:27], v[24:25]
	v_add_f64 v[26:27], v[38:39], v[36:37]
	v_add_f64 v[117:118], v[117:118], -v[167:168]
	v_mul_f64 v[36:37], v[104:105], s[28:29]
	v_mul_f64 v[38:39], v[127:128], s[30:31]
	v_add_f64 v[24:25], v[40:41], v[24:25]
	v_add_f64 v[26:27], v[42:43], v[26:27]
	v_mul_f64 v[40:41], v[119:120], s[30:31]
	v_add_f64 v[36:37], v[36:37], -v[189:190]
	v_add_f64 v[38:39], v[211:212], v[38:39]
	v_mul_f64 v[42:43], v[78:79], s[30:31]
	v_add_f64 v[24:25], v[115:116], v[24:25]
	v_add_f64 v[26:27], v[117:118], v[26:27]
	v_add_f64 v[40:41], v[40:41], -v[209:210]
	v_mul_f64 v[115:116], v[92:93], s[28:29]
	v_mul_f64 v[117:118], v[84:85], s[28:29]
	v_add_f64 v[42:43], v[42:43], -v[153:154]
	v_add_f64 v[24:25], v[133:134], v[24:25]
	v_add_f64 v[36:37], v[36:37], v[26:27]
	v_mul_f64 v[133:134], v[109:110], s[18:19]
	v_add_f64 v[115:116], v[185:186], v[115:116]
	v_add_f64 v[117:118], v[117:118], -v[177:178]
	v_add_f64 v[26:27], v[38:39], v[24:25]
	v_add_f64 v[24:25], v[40:41], v[36:37]
	v_mul_f64 v[36:37], v[76:77], s[22:23]
	v_mul_f64 v[38:39], v[70:71], s[22:23]
	;; [unrolled: 1-line block ×3, first 2 shown]
	v_add_f64 v[133:134], v[199:200], v[133:134]
	v_add_f64 v[36:37], v[143:144], v[36:37]
	v_add_f64 v[38:39], v[38:39], -v[141:142]
	v_add_f64 v[40:41], v[157:158], v[40:41]
	v_add_f64 v[28:29], v[36:37], v[28:29]
	;; [unrolled: 1-line block ×3, first 2 shown]
	v_mul_f64 v[36:37], v[104:105], s[18:19]
	v_mul_f64 v[38:39], v[127:128], s[6:7]
	v_add_f64 v[28:29], v[40:41], v[28:29]
	v_add_f64 v[30:31], v[42:43], v[30:31]
	v_add_f64 v[36:37], v[36:37], -v[195:196]
	v_mul_f64 v[40:41], v[119:120], s[6:7]
	v_add_f64 v[38:39], v[207:208], v[38:39]
	v_mul_f64 v[42:43], v[78:79], s[22:23]
	v_add_f64 v[28:29], v[115:116], v[28:29]
	v_add_f64 v[30:31], v[117:118], v[30:31]
	v_mul_f64 v[115:116], v[92:93], s[6:7]
	v_add_f64 v[40:41], v[40:41], -v[203:204]
	v_mul_f64 v[117:118], v[84:85], s[6:7]
	v_add_f64 v[42:43], v[42:43], -v[145:146]
	v_add_f64 v[28:29], v[133:134], v[28:29]
	v_add_f64 v[36:37], v[36:37], v[30:31]
	v_add_f64 v[115:116], v[165:166], v[115:116]
	v_add_f64 v[117:118], v[117:118], -v[161:162]
	v_add_f64 v[30:31], v[38:39], v[28:29]
	v_add_f64 v[28:29], v[40:41], v[36:37]
	v_mul_f64 v[36:37], v[76:77], s[30:31]
	v_mul_f64 v[38:39], v[70:71], s[30:31]
	;; [unrolled: 1-line block ×3, first 2 shown]
	v_add_f64 v[36:37], v[135:136], v[36:37]
	v_add_f64 v[38:39], v[38:39], -v[129:130]
	v_add_f64 v[40:41], v[149:150], v[40:41]
	v_mul_f64 v[129:130], v[109:110], s[10:11]
	v_add_f64 v[32:33], v[36:37], v[32:33]
	v_add_f64 v[34:35], v[38:39], v[34:35]
	v_mul_f64 v[36:37], v[104:105], s[10:11]
	v_add_f64 v[129:130], v[183:184], v[129:130]
	v_mul_f64 v[38:39], v[127:128], s[28:29]
	v_add_f64 v[32:33], v[40:41], v[32:33]
	v_add_f64 v[34:35], v[42:43], v[34:35]
	v_add_f64 v[36:37], v[36:37], -v[175:176]
	v_mul_f64 v[40:41], v[119:120], s[28:29]
	v_add_f64 v[38:39], v[197:198], v[38:39]
	v_mul_f64 v[42:43], v[78:79], s[6:7]
	v_add_f64 v[32:33], v[115:116], v[32:33]
	v_add_f64 v[34:35], v[117:118], v[34:35]
	v_mul_f64 v[115:116], v[92:93], s[18:19]
	v_add_f64 v[40:41], v[40:41], -v[191:192]
	v_mul_f64 v[117:118], v[84:85], s[18:19]
	v_add_f64 v[42:43], v[42:43], -v[131:132]
	v_add_f64 v[32:33], v[129:130], v[32:33]
	v_add_f64 v[36:37], v[36:37], v[34:35]
	;; [unrolled: 1-line block ×3, first 2 shown]
	v_add_f64 v[117:118], v[117:118], -v[147:148]
	v_add_f64 v[34:35], v[38:39], v[32:33]
	v_add_f64 v[32:33], v[40:41], v[36:37]
	v_mul_f64 v[36:37], v[76:77], s[28:29]
	v_mul_f64 v[40:41], v[70:71], s[28:29]
	;; [unrolled: 1-line block ×3, first 2 shown]
	v_add_f64 v[36:37], v[125:126], v[36:37]
	v_add_f64 v[40:41], v[40:41], -v[123:124]
	v_add_f64 v[38:39], v[137:138], v[38:39]
	v_mul_f64 v[123:124], v[109:110], s[30:31]
	v_add_f64 v[36:37], v[36:37], v[62:63]
	v_add_f64 v[40:41], v[40:41], v[64:65]
	v_mul_f64 v[62:63], v[104:105], s[30:31]
	v_add_f64 v[123:124], v[169:170], v[123:124]
	v_add_f64 v[36:37], v[38:39], v[36:37]
	;; [unrolled: 1-line block ×3, first 2 shown]
	v_add_f64 v[62:63], v[62:63], -v[163:164]
	v_mul_f64 v[40:41], v[127:128], s[10:11]
	v_mul_f64 v[42:43], v[119:120], s[10:11]
	v_add_f64 v[36:37], v[115:116], v[36:37]
	v_add_f64 v[38:39], v[117:118], v[38:39]
	;; [unrolled: 1-line block ×3, first 2 shown]
	v_add_f64 v[42:43], v[42:43], -v[181:182]
	v_add_f64 v[36:37], v[123:124], v[36:37]
	v_add_f64 v[62:63], v[62:63], v[38:39]
	;; [unrolled: 1-line block ×4, first 2 shown]
	v_mul_f64 v[62:63], v[76:77], s[18:19]
	v_fma_f64 v[40:41], v[68:69], s[40:41], v[62:63]
	v_fma_f64 v[50:51], v[68:69], s[16:17], v[62:63]
	v_add_f64 v[40:41], v[40:41], v[60:61]
	v_mul_f64 v[60:61], v[72:73], s[40:41]
	v_add_f64 v[50:51], v[50:51], v[58:59]
	v_fma_f64 v[42:43], v[70:71], s[18:19], -v[60:61]
	v_fma_f64 v[54:55], v[70:71], s[18:19], v[60:61]
	v_add_f64 v[42:43], v[42:43], v[48:49]
	v_mul_f64 v[48:49], v[86:87], s[10:11]
	v_add_f64 v[52:53], v[54:55], v[52:53]
	v_fma_f64 v[64:65], v[74:75], s[8:9], v[48:49]
	v_fma_f64 v[48:49], v[74:75], s[42:43], v[48:49]
	v_add_f64 v[40:41], v[64:65], v[40:41]
	v_mul_f64 v[64:65], v[82:83], s[8:9]
	v_add_f64 v[48:49], v[48:49], v[50:51]
	v_fma_f64 v[72:73], v[78:79], s[10:11], -v[64:65]
	v_fma_f64 v[54:55], v[78:79], s[10:11], v[64:65]
	v_add_f64 v[42:43], v[72:73], v[42:43]
	v_mul_f64 v[72:73], v[92:93], s[30:31]
	v_mul_f64 v[92:93], v[127:128], s[22:23]
	v_add_f64 v[52:53], v[54:55], v[52:53]
	v_fma_f64 v[76:77], v[80:81], s[44:45], v[72:73]
	v_fma_f64 v[56:57], v[80:81], s[24:25], v[72:73]
	v_add_f64 v[40:41], v[76:77], v[40:41]
	v_mul_f64 v[76:77], v[90:91], s[44:45]
	v_add_f64 v[48:49], v[56:57], v[48:49]
	v_fma_f64 v[56:57], v[106:107], s[34:35], v[92:93]
	v_fma_f64 v[82:83], v[84:85], s[30:31], -v[76:77]
	v_fma_f64 v[50:51], v[84:85], s[30:31], v[76:77]
	v_add_f64 v[42:43], v[82:83], v[42:43]
	v_mul_f64 v[82:83], v[109:110], s[6:7]
	v_add_f64 v[50:51], v[50:51], v[52:53]
	v_fma_f64 v[86:87], v[88:89], s[38:39], v[82:83]
	v_fma_f64 v[54:55], v[88:89], s[4:5], v[82:83]
	v_add_f64 v[40:41], v[86:87], v[40:41]
	v_mul_f64 v[86:87], v[100:101], s[38:39]
	v_mul_f64 v[100:101], v[121:122], s[20:21]
	v_add_f64 v[48:49], v[54:55], v[48:49]
	v_fma_f64 v[90:91], v[104:105], s[6:7], -v[86:87]
	v_fma_f64 v[52:53], v[104:105], s[6:7], v[86:87]
	v_fma_f64 v[54:55], v[119:120], s[22:23], v[100:101]
	v_add_f64 v[90:91], v[90:91], v[42:43]
	v_fma_f64 v[42:43], v[106:107], s[20:21], v[92:93]
	v_add_f64 v[52:53], v[52:53], v[50:51]
	v_add_f64 v[50:51], v[56:57], v[48:49]
	v_add_f64 v[42:43], v[42:43], v[40:41]
	v_fma_f64 v[40:41], v[119:120], s[22:23], -v[100:101]
	v_add_f64 v[48:49], v[54:55], v[52:53]
	v_and_b32_e32 v52, 0xffff, v216
	v_add_lshl_u32 v52, v217, v52, 4
	v_add_f64 v[40:41], v[40:41], v[90:91]
	ds_write_b128 v52, v[20:23]
	ds_write_b128 v52, v[24:27] offset:16
	ds_write_b128 v52, v[28:31] offset:32
	;; [unrolled: 1-line block ×12, first 2 shown]
.LBB0_7:
	s_or_b32 exec_lo, exec_lo, s33
	v_add_nc_u16 v16, v213, 39
	v_and_b32_e32 v17, 0xff, v213
	v_add_nc_u16 v18, v213, 0x4e
	s_load_dwordx4 s[4:7], s[2:3], 0x0
	s_waitcnt lgkmcnt(0)
	v_and_b32_e32 v19, 0xff, v16
	v_mul_lo_u16 v17, 0x4f, v17
	v_and_b32_e32 v20, 0xff, v18
	s_barrier
	buffer_gl0_inv
	v_mul_lo_u16 v19, 0x4f, v19
	v_lshrrev_b16 v109, 10, v17
	v_mul_lo_u16 v17, 0x4f, v20
	v_mov_b32_e32 v20, 5
	v_add_lshl_u32 v159, v217, v213, 4
	v_lshrrev_b16 v110, 10, v19
	v_mul_lo_u16 v19, v109, 13
	v_lshrrev_b16 v111, 10, v17
	s_mov_b32 s2, 0xe8584caa
	s_mov_b32 s3, 0x3febb67a
	v_mul_lo_u16 v17, v110, 13
	v_sub_nc_u16 v112, v213, v19
	v_mul_lo_u16 v19, v111, 13
	s_mov_b32 s9, 0xbfebb67a
	s_mov_b32 s8, s2
	v_sub_nc_u16 v113, v16, v17
	v_lshlrev_b32_sdwa v16, v20, v112 dst_sel:DWORD dst_unused:UNUSED_PAD src0_sel:DWORD src1_sel:BYTE_0
	v_sub_nc_u16 v114, v18, v19
	v_mov_b32_e32 v115, 39
	s_mov_b32 s10, 0x8c811c17
	v_lshlrev_b32_sdwa v17, v20, v113 dst_sel:DWORD dst_unused:UNUSED_PAD src0_sel:DWORD src1_sel:BYTE_0
	s_clause 0x1
	global_load_dwordx4 v[28:31], v16, s[0:1]
	global_load_dwordx4 v[24:27], v16, s[0:1] offset:16
	v_lshlrev_b32_sdwa v32, v20, v114 dst_sel:DWORD dst_unused:UNUSED_PAD src0_sel:DWORD src1_sel:BYTE_0
	v_mul_u32_u24_sdwa v109, v109, v115 dst_sel:DWORD dst_unused:UNUSED_PAD src0_sel:WORD_0 src1_sel:DWORD
	s_mov_b32 s16, 0xa2cf5039
	s_clause 0x3
	global_load_dwordx4 v[20:23], v17, s[0:1]
	global_load_dwordx4 v[16:19], v17, s[0:1] offset:16
	global_load_dwordx4 v[36:39], v32, s[0:1]
	global_load_dwordx4 v[32:35], v32, s[0:1] offset:16
	ds_read_b128 v[40:43], v159 offset:1872
	ds_read_b128 v[44:47], v159 offset:3744
	;; [unrolled: 1-line block ×7, first 2 shown]
	s_mov_b32 s11, 0x3fef838b
	s_mov_b32 s17, 0x3fe8836f
	v_lshl_add_u32 v158, v213, 4, v215
	v_lshl_add_u32 v157, v213, 4, v215
	s_waitcnt vmcnt(5) lgkmcnt(6)
	v_mul_f64 v[68:69], v[42:43], v[30:31]
	s_waitcnt vmcnt(4) lgkmcnt(5)
	v_mul_f64 v[70:71], v[46:47], v[26:27]
	v_mul_f64 v[72:73], v[40:41], v[30:31]
	v_mul_f64 v[74:75], v[44:45], v[26:27]
	s_waitcnt vmcnt(3) lgkmcnt(4)
	v_mul_f64 v[76:77], v[50:51], v[22:23]
	s_waitcnt vmcnt(2) lgkmcnt(3)
	v_mul_f64 v[78:79], v[54:55], v[18:19]
	v_mul_f64 v[80:81], v[48:49], v[22:23]
	v_mul_f64 v[82:83], v[52:53], v[18:19]
	;; [unrolled: 6-line block ×3, first 2 shown]
	v_fma_f64 v[68:69], v[40:41], v[28:29], -v[68:69]
	v_fma_f64 v[70:71], v[44:45], v[24:25], -v[70:71]
	v_fma_f64 v[72:73], v[42:43], v[28:29], v[72:73]
	v_fma_f64 v[74:75], v[46:47], v[24:25], v[74:75]
	v_fma_f64 v[48:49], v[48:49], v[20:21], -v[76:77]
	v_fma_f64 v[52:53], v[52:53], v[16:17], -v[78:79]
	v_fma_f64 v[50:51], v[50:51], v[20:21], v[80:81]
	v_fma_f64 v[54:55], v[54:55], v[16:17], v[82:83]
	;; [unrolled: 4-line block ×3, first 2 shown]
	ds_read_b128 v[40:43], v159
	ds_read_b128 v[44:47], v159 offset:624
	s_waitcnt lgkmcnt(0)
	s_barrier
	buffer_gl0_inv
	v_add_f64 v[76:77], v[68:69], v[70:71]
	v_add_f64 v[78:79], v[72:73], v[74:75]
	v_add_f64 v[90:91], v[72:73], -v[74:75]
	v_add_f64 v[80:81], v[48:49], v[52:53]
	v_add_f64 v[102:103], v[48:49], -v[52:53]
	v_add_f64 v[82:83], v[50:51], v[54:55]
	v_add_f64 v[96:97], v[64:65], v[56:57]
	;; [unrolled: 1-line block ×8, first 2 shown]
	v_add_f64 v[68:69], v[68:69], -v[70:71]
	v_add_f64 v[98:99], v[66:67], v[58:59]
	v_add_f64 v[100:101], v[50:51], -v[54:55]
	v_add_f64 v[104:105], v[58:59], -v[62:63]
	;; [unrolled: 1-line block ×3, first 2 shown]
	v_fma_f64 v[76:77], v[76:77], -0.5, v[40:41]
	v_fma_f64 v[78:79], v[78:79], -0.5, v[42:43]
	;; [unrolled: 1-line block ×4, first 2 shown]
	v_add_f64 v[48:49], v[96:97], v[60:61]
	v_fma_f64 v[84:85], v[84:85], -0.5, v[64:65]
	v_add_f64 v[40:41], v[88:89], v[70:71]
	v_fma_f64 v[86:87], v[86:87], -0.5, v[66:67]
	v_add_f64 v[42:43], v[72:73], v[74:75]
	v_add_f64 v[44:45], v[92:93], v[52:53]
	;; [unrolled: 1-line block ×4, first 2 shown]
	v_fma_f64 v[52:53], v[90:91], s[2:3], v[76:77]
	v_fma_f64 v[56:57], v[90:91], s[8:9], v[76:77]
	;; [unrolled: 1-line block ×12, first 2 shown]
	v_add_nc_u32_sdwa v76, v109, v112 dst_sel:DWORD dst_unused:UNUSED_PAD src0_sel:DWORD src1_sel:BYTE_0
	v_mul_u32_u24_sdwa v77, v110, v115 dst_sel:DWORD dst_unused:UNUSED_PAD src0_sel:WORD_0 src1_sel:DWORD
	v_mul_u32_u24_sdwa v78, v111, v115 dst_sel:DWORD dst_unused:UNUSED_PAD src0_sel:WORD_0 src1_sel:DWORD
	v_lshlrev_b32_e32 v79, 7, v213
	s_mov_b32 s2, 0xe8584cab
	v_add_lshl_u32 v162, v217, v76, 4
	v_add_nc_u32_sdwa v76, v77, v113 dst_sel:DWORD dst_unused:UNUSED_PAD src0_sel:DWORD src1_sel:BYTE_0
	v_add_nc_u32_sdwa v77, v78, v114 dst_sel:DWORD dst_unused:UNUSED_PAD src0_sel:DWORD src1_sel:BYTE_0
	s_mov_b32 s8, s2
	v_add_lshl_u32 v161, v217, v76, 4
	v_add_lshl_u32 v160, v217, v77, 4
	ds_write_b128 v162, v[40:43]
	ds_write_b128 v162, v[52:55] offset:208
	ds_write_b128 v162, v[56:59] offset:416
	ds_write_b128 v161, v[44:47]
	ds_write_b128 v161, v[60:63] offset:208
	ds_write_b128 v161, v[64:67] offset:416
	;; [unrolled: 3-line block ×3, first 2 shown]
	s_waitcnt lgkmcnt(0)
	s_barrier
	buffer_gl0_inv
	s_clause 0x7
	global_load_dwordx4 v[48:51], v79, s[0:1] offset:416
	global_load_dwordx4 v[56:59], v79, s[0:1] offset:528
	;; [unrolled: 1-line block ×8, first 2 shown]
	ds_read_b128 v[72:75], v159 offset:624
	ds_read_b128 v[76:79], v159 offset:4992
	;; [unrolled: 1-line block ×8, first 2 shown]
	s_mov_b32 s1, 0x3fe491b7
	s_mov_b32 s0, 0x523c161c
	s_waitcnt vmcnt(7) lgkmcnt(7)
	v_mul_f64 v[104:105], v[74:75], v[50:51]
	v_mul_f64 v[106:107], v[72:73], v[50:51]
	s_waitcnt vmcnt(6) lgkmcnt(6)
	v_mul_f64 v[109:110], v[78:79], v[58:59]
	v_mul_f64 v[111:112], v[76:77], v[58:59]
	;; [unrolled: 3-line block ×6, first 2 shown]
	v_fma_f64 v[104:105], v[72:73], v[48:49], -v[104:105]
	v_fma_f64 v[106:107], v[74:75], v[48:49], v[106:107]
	ds_read_b128 v[72:75], v159
	v_fma_f64 v[76:77], v[76:77], v[56:57], -v[109:110]
	v_fma_f64 v[78:79], v[78:79], v[56:57], v[111:112]
	v_fma_f64 v[80:81], v[80:81], v[52:53], -v[113:114]
	v_fma_f64 v[82:83], v[82:83], v[52:53], v[115:116]
	;; [unrolled: 2-line block ×5, first 2 shown]
	s_waitcnt vmcnt(1) lgkmcnt(2)
	v_mul_f64 v[109:110], v[98:99], v[46:47]
	v_mul_f64 v[111:112], v[96:97], v[46:47]
	s_waitcnt vmcnt(0) lgkmcnt(1)
	v_mul_f64 v[113:114], v[102:103], v[42:43]
	v_mul_f64 v[115:116], v[100:101], v[42:43]
	v_add_f64 v[117:118], v[104:105], -v[76:77]
	v_add_f64 v[119:120], v[106:107], -v[78:79]
	v_add_f64 v[76:77], v[104:105], v[76:77]
	v_add_f64 v[78:79], v[106:107], v[78:79]
	;; [unrolled: 1-line block ×4, first 2 shown]
	v_add_f64 v[121:122], v[80:81], -v[84:85]
	v_add_f64 v[123:124], v[82:83], -v[86:87]
	v_add_f64 v[125:126], v[88:89], v[92:93]
	v_add_f64 v[127:128], v[90:91], v[94:95]
	v_add_f64 v[88:89], v[88:89], -v[92:93]
	v_add_f64 v[90:91], v[90:91], -v[94:95]
	v_fma_f64 v[96:97], v[96:97], v[44:45], -v[109:110]
	v_fma_f64 v[98:99], v[98:99], v[44:45], v[111:112]
	v_fma_f64 v[100:101], v[100:101], v[40:41], -v[113:114]
	v_fma_f64 v[102:103], v[102:103], v[40:41], v[115:116]
	v_mul_f64 v[92:93], v[117:118], s[0:1]
	v_mul_f64 v[94:95], v[119:120], s[0:1]
	s_mov_b32 s1, 0xbfe491b7
	s_waitcnt lgkmcnt(0)
	v_fma_f64 v[109:110], v[76:77], s[16:17], v[72:73]
	v_fma_f64 v[111:112], v[78:79], s[16:17], v[74:75]
	;; [unrolled: 1-line block ×4, first 2 shown]
	v_mul_f64 v[129:130], v[121:122], s[10:11]
	v_mul_f64 v[131:132], v[123:124], s[10:11]
	v_fma_f64 v[133:134], v[125:126], s[16:17], v[72:73]
	v_fma_f64 v[135:136], v[127:128], s[16:17], v[74:75]
	v_mul_f64 v[137:138], v[123:124], s[0:1]
	v_mul_f64 v[139:140], v[121:122], s[0:1]
	s_mov_b32 s16, 0x7e0b738b
	s_mov_b32 s17, 0x3fc63a1a
	v_add_f64 v[141:142], v[96:97], v[100:101]
	v_add_f64 v[143:144], v[98:99], v[102:103]
	;; [unrolled: 1-line block ×4, first 2 shown]
	v_add_f64 v[96:97], v[96:97], -v[100:101]
	v_add_f64 v[98:99], v[98:99], -v[102:103]
	v_fma_f64 v[92:93], v[88:89], s[10:11], v[92:93]
	v_fma_f64 v[94:95], v[90:91], s[10:11], v[94:95]
	;; [unrolled: 1-line block ×6, first 2 shown]
	v_fma_f64 v[113:114], v[88:89], s[0:1], -v[129:130]
	v_fma_f64 v[115:116], v[90:91], s[0:1], -v[131:132]
	v_fma_f64 v[129:130], v[104:105], s[16:17], v[133:134]
	v_fma_f64 v[131:132], v[106:107], s[16:17], v[135:136]
	;; [unrolled: 1-line block ×4, first 2 shown]
	v_add_f64 v[137:138], v[121:122], v[117:118]
	v_add_f64 v[139:140], v[123:124], v[119:120]
	;; [unrolled: 1-line block ×8, first 2 shown]
	s_mov_b32 s0, 0x748a0bf8
	v_fma_f64 v[92:93], v[96:97], s[2:3], v[92:93]
	v_fma_f64 v[94:95], v[98:99], s[2:3], v[94:95]
	s_mov_b32 s10, 0x42522d1b
	v_fma_f64 v[100:101], v[141:142], -0.5, v[100:101]
	v_fma_f64 v[102:103], v[143:144], -0.5, v[102:103]
	v_fma_f64 v[109:110], v[141:142], -0.5, v[109:110]
	v_fma_f64 v[111:112], v[143:144], -0.5, v[111:112]
	v_fma_f64 v[113:114], v[96:97], s[2:3], v[113:114]
	v_fma_f64 v[115:116], v[98:99], s[2:3], v[115:116]
	v_fma_f64 v[129:130], v[141:142], -0.5, v[129:130]
	v_fma_f64 v[131:132], v[143:144], -0.5, v[131:132]
	v_fma_f64 v[98:99], v[98:99], s[8:9], v[133:134]
	v_fma_f64 v[96:97], v[96:97], s[8:9], v[135:136]
	s_mov_b32 s1, 0x3fd5e3a8
	s_mov_b32 s11, 0xbfee11f6
	v_add_f64 v[133:134], v[137:138], -v[88:89]
	v_add_f64 v[135:136], v[139:140], -v[90:91]
	v_fma_f64 v[137:138], v[153:154], -0.5, v[149:150]
	v_fma_f64 v[139:140], v[155:156], -0.5, v[151:152]
	v_add_f64 v[80:81], v[80:81], v[145:146]
	v_add_f64 v[82:83], v[82:83], v[147:148]
	v_fma_f64 v[92:93], v[121:122], s[0:1], v[92:93]
	v_fma_f64 v[94:95], v[123:124], s[0:1], v[94:95]
	;; [unrolled: 1-line block ×12, first 2 shown]
	v_mul_f64 v[121:122], v[133:134], s[2:3]
	v_mul_f64 v[123:124], v[135:136], s[2:3]
	v_fma_f64 v[96:97], v[135:136], s[2:3], v[137:138]
	v_fma_f64 v[98:99], v[133:134], s[8:9], v[139:140]
	v_add_f64 v[80:81], v[84:85], v[80:81]
	v_add_f64 v[82:83], v[86:87], v[82:83]
	v_add_f64 v[104:105], v[94:95], v[100:101]
	v_add_f64 v[106:107], v[102:103], -v[92:93]
	v_add_f64 v[88:89], v[115:116], v[76:77]
	v_add_f64 v[90:91], v[78:79], -v[113:114]
	v_add_f64 v[100:101], v[117:118], v[109:110]
	v_add_f64 v[102:103], v[111:112], -v[119:120]
	v_fma_f64 v[84:85], v[123:124], -2.0, v[96:97]
	v_fma_f64 v[86:87], v[121:122], 2.0, v[98:99]
	v_add_f64 v[72:73], v[72:73], v[80:81]
	v_add_f64 v[74:75], v[74:75], v[82:83]
	v_fma_f64 v[76:77], v[94:95], -2.0, v[104:105]
	v_fma_f64 v[78:79], v[92:93], 2.0, v[106:107]
	v_fma_f64 v[92:93], v[115:116], -2.0, v[88:89]
	v_fma_f64 v[94:95], v[113:114], 2.0, v[90:91]
	;; [unrolled: 2-line block ×3, first 2 shown]
	ds_write_b128 v158, v[72:75]
	ds_write_b128 v157, v[104:107] offset:624
	ds_write_b128 v157, v[96:99] offset:1872
	;; [unrolled: 1-line block ×8, first 2 shown]
	s_waitcnt lgkmcnt(0)
	s_barrier
	buffer_gl0_inv
	s_and_saveexec_b32 s1, vcc_lo
	s_cbranch_execz .LBB0_9
; %bb.8:
	v_add_co_u32 v145, s0, s14, v214
	v_add_co_ci_u32_e64 v146, null, s15, 0, s0
	v_add_co_u32 v109, s0, 0x1000, v145
	v_add_co_ci_u32_e64 v110, s0, 0, v146, s0
	v_add_co_u32 v125, s0, 0x15f0, v145
	v_add_co_ci_u32_e64 v126, s0, 0, v146, s0
	global_load_dwordx4 v[109:112], v[109:110], off offset:1520
	v_add_co_u32 v129, s0, 0x1800, v145
	s_clause 0x1
	global_load_dwordx4 v[113:116], v[125:126], off offset:432
	global_load_dwordx4 v[117:120], v[125:126], off offset:864
	v_add_co_ci_u32_e64 v130, s0, 0, v146, s0
	v_add_co_u32 v149, s0, 0x2000, v145
	v_add_co_ci_u32_e64 v150, s0, 0, v146, s0
	v_add_co_u32 v163, s0, 0x2800, v145
	s_clause 0x5
	global_load_dwordx4 v[121:124], v[125:126], off offset:1296
	global_load_dwordx4 v[125:128], v[125:126], off offset:1728
	;; [unrolled: 1-line block ×6, first 2 shown]
	v_add_co_ci_u32_e64 v164, s0, 0, v146, s0
	s_clause 0x3
	global_load_dwordx4 v[145:148], v[149:150], off offset:1312
	global_load_dwordx4 v[149:152], v[149:150], off offset:1744
	;; [unrolled: 1-line block ×4, first 2 shown]
	ds_read_b128 v[167:170], v158
	s_waitcnt vmcnt(12) lgkmcnt(0)
	v_mul_f64 v[171:172], v[169:170], v[111:112]
	v_mul_f64 v[111:112], v[167:168], v[111:112]
	v_fma_f64 v[167:168], v[167:168], v[109:110], -v[171:172]
	v_fma_f64 v[169:170], v[169:170], v[109:110], v[111:112]
	ds_write_b128 v158, v[167:170]
	ds_read_b128 v[109:112], v157 offset:432
	ds_read_b128 v[167:170], v157 offset:864
	ds_read_b128 v[171:174], v157 offset:1296
	ds_read_b128 v[175:178], v157 offset:1728
	ds_read_b128 v[179:182], v157 offset:2160
	ds_read_b128 v[183:186], v157 offset:2592
	ds_read_b128 v[187:190], v157 offset:3024
	ds_read_b128 v[191:194], v157 offset:3456
	ds_read_b128 v[195:198], v157 offset:3888
	ds_read_b128 v[199:202], v157 offset:4320
	ds_read_b128 v[203:206], v157 offset:4752
	ds_read_b128 v[207:210], v157 offset:5184
	s_waitcnt vmcnt(11) lgkmcnt(11)
	v_mul_f64 v[211:212], v[111:112], v[115:116]
	v_mul_f64 v[115:116], v[109:110], v[115:116]
	s_waitcnt vmcnt(10) lgkmcnt(10)
	v_mul_f64 v[217:218], v[169:170], v[119:120]
	v_mul_f64 v[119:120], v[167:168], v[119:120]
	;; [unrolled: 3-line block ×12, first 2 shown]
	v_fma_f64 v[109:110], v[109:110], v[113:114], -v[211:212]
	v_fma_f64 v[111:112], v[111:112], v[113:114], v[115:116]
	v_fma_f64 v[113:114], v[167:168], v[117:118], -v[217:218]
	v_fma_f64 v[115:116], v[169:170], v[117:118], v[119:120]
	;; [unrolled: 2-line block ×12, first 2 shown]
	ds_write_b128 v157, v[109:112] offset:432
	ds_write_b128 v157, v[113:116] offset:864
	;; [unrolled: 1-line block ×12, first 2 shown]
.LBB0_9:
	s_or_b32 exec_lo, exec_lo, s1
	s_waitcnt lgkmcnt(0)
	s_barrier
	buffer_gl0_inv
	s_and_saveexec_b32 s0, vcc_lo
	s_cbranch_execz .LBB0_11
; %bb.10:
	ds_read_b128 v[72:75], v158
	ds_read_b128 v[104:107], v158 offset:432
	ds_read_b128 v[100:103], v158 offset:864
	;; [unrolled: 1-line block ×12, first 2 shown]
.LBB0_11:
	s_or_b32 exec_lo, exec_lo, s0
	s_waitcnt lgkmcnt(0)
	s_barrier
	buffer_gl0_inv
	s_and_saveexec_b32 s33, vcc_lo
	s_cbranch_execz .LBB0_13
; %bb.12:
	v_add_f64 v[121:122], v[104:105], -v[0:1]
	v_add_f64 v[141:142], v[106:107], -v[2:3]
	s_mov_b32 s8, 0x4bc48dbf
	s_mov_b32 s9, 0xbfcea1e5
	v_add_f64 v[139:140], v[100:101], -v[4:5]
	v_add_f64 v[137:138], v[102:103], -v[6:7]
	v_add_f64 v[129:130], v[106:107], v[2:3]
	v_add_f64 v[127:128], v[104:105], v[0:1]
	s_mov_b32 s0, 0x93053d00
	s_mov_b32 s29, 0x3fddbe06
	;; [unrolled: 1-line block ×4, first 2 shown]
	v_add_f64 v[131:132], v[96:97], -v[8:9]
	v_add_f64 v[123:124], v[102:103], v[6:7]
	v_add_f64 v[135:136], v[98:99], -v[10:11]
	v_add_f64 v[125:126], v[100:101], v[4:5]
	s_mov_b32 s18, 0x24c2f84
	s_mov_b32 s19, 0xbfe5384d
	;; [unrolled: 1-line block ×4, first 2 shown]
	v_add_f64 v[119:120], v[88:89], -v[12:13]
	v_add_f64 v[149:150], v[98:99], v[10:11]
	v_mul_f64 v[133:134], v[121:122], s[8:9]
	v_mul_f64 v[143:144], v[141:142], s[8:9]
	;; [unrolled: 1-line block ×6, first 2 shown]
	v_add_f64 v[155:156], v[90:91], -v[14:15]
	v_add_f64 v[151:152], v[96:97], v[8:9]
	s_mov_b32 s16, 0x66966769
	s_mov_b32 s24, 0xd0032e0c
	;; [unrolled: 1-line block ×4, first 2 shown]
	v_mul_f64 v[169:170], v[131:132], s[18:19]
	s_mov_b32 s30, 0x42a4c3d2
	v_mul_f64 v[171:172], v[135:136], s[18:19]
	s_mov_b32 s31, 0x3fea55e2
	v_mul_f64 v[175:176], v[137:138], s[16:17]
	v_add_f64 v[117:118], v[92:93], -v[76:77]
	v_add_f64 v[115:116], v[90:91], v[14:15]
	v_mul_f64 v[173:174], v[139:140], s[16:17]
	v_mul_f64 v[193:194], v[119:120], s[30:31]
	s_mov_b32 s2, 0xebaa3ed8
	v_fma_f64 v[153:154], v[129:130], s[0:1], v[133:134]
	v_fma_f64 v[167:168], v[127:128], s[0:1], -v[143:144]
	v_fma_f64 v[133:134], v[129:130], s[0:1], -v[133:134]
	v_fma_f64 v[143:144], v[127:128], s[0:1], v[143:144]
	v_fma_f64 v[177:178], v[123:124], s[22:23], v[145:146]
	v_fma_f64 v[179:180], v[125:126], s[22:23], -v[147:148]
	v_fma_f64 v[145:146], v[123:124], s[22:23], -v[145:146]
	v_fma_f64 v[181:182], v[125:126], s[22:23], v[147:148]
	v_fma_f64 v[185:186], v[127:128], s[24:25], -v[165:166]
	v_fma_f64 v[183:184], v[129:130], s[24:25], v[163:164]
	v_add_f64 v[147:148], v[88:89], v[12:13]
	v_mul_f64 v[195:196], v[155:156], s[30:31]
	v_fma_f64 v[201:202], v[149:150], s[24:25], v[169:170]
	v_fma_f64 v[169:170], v[149:150], s[24:25], -v[169:170]
	v_fma_f64 v[203:204], v[151:152], s[24:25], -v[171:172]
	v_fma_f64 v[171:172], v[151:152], s[24:25], v[171:172]
	s_mov_b32 s3, 0x3fbedb7d
	s_mov_b32 s35, 0xbfea55e2
	;; [unrolled: 1-line block ×5, first 2 shown]
	v_mul_f64 v[199:200], v[135:136], s[34:35]
	v_add_f64 v[187:188], v[74:75], v[153:154]
	v_add_f64 v[167:168], v[72:73], v[167:168]
	;; [unrolled: 1-line block ×4, first 2 shown]
	v_add_f64 v[153:154], v[94:95], -v[78:79]
	v_fma_f64 v[207:208], v[125:126], s[2:3], -v[175:176]
	v_add_f64 v[113:114], v[84:85], -v[80:81]
	v_add_f64 v[111:112], v[94:95], v[78:79]
	v_add_f64 v[185:186], v[72:73], v[185:186]
	v_add_f64 v[143:144], v[86:87], -v[82:83]
	v_mul_f64 v[197:198], v[131:132], s[34:35]
	v_fma_f64 v[205:206], v[123:124], s[2:3], v[173:174]
	v_add_f64 v[183:184], v[74:75], v[183:184]
	v_fma_f64 v[211:212], v[115:116], s[26:27], v[193:194]
	v_fma_f64 v[217:218], v[147:148], s[26:27], -v[195:196]
	v_fma_f64 v[193:194], v[115:116], s[26:27], -v[193:194]
	v_fma_f64 v[195:196], v[147:148], s[26:27], v[195:196]
	s_mov_b32 s41, 0x3fcea1e5
	s_mov_b32 s40, s8
	;; [unrolled: 1-line block ×4, first 2 shown]
	v_mul_f64 v[209:210], v[155:156], s[40:41]
	v_add_f64 v[177:178], v[177:178], v[187:188]
	v_add_f64 v[167:168], v[179:180], v[167:168]
	;; [unrolled: 1-line block ×5, first 2 shown]
	v_mul_f64 v[187:188], v[117:118], s[20:21]
	v_mul_f64 v[189:190], v[153:154], s[20:21]
	v_fma_f64 v[221:222], v[151:152], s[26:27], -v[199:200]
	v_add_f64 v[185:186], v[207:208], v[185:186]
	v_add_f64 v[109:110], v[86:87], v[82:83]
	;; [unrolled: 1-line block ×3, first 2 shown]
	v_mul_f64 v[191:192], v[119:120], s[40:41]
	v_fma_f64 v[219:220], v[149:150], s[26:27], v[197:198]
	v_add_f64 v[183:184], v[205:206], v[183:184]
	v_fma_f64 v[163:164], v[129:130], s[24:25], -v[163:164]
	v_mul_f64 v[223:224], v[121:122], s[20:21]
	v_fma_f64 v[165:166], v[127:128], s[24:25], v[165:166]
	s_mov_b32 s39, 0xbfefc445
	s_mov_b32 s37, 0x3fe5384d
	;; [unrolled: 1-line block ×4, first 2 shown]
	v_fma_f64 v[231:232], v[147:148], s[0:1], -v[209:210]
	v_add_f64 v[177:178], v[201:202], v[177:178]
	v_add_f64 v[167:168], v[203:204], v[167:168]
	;; [unrolled: 1-line block ×4, first 2 shown]
	v_mul_f64 v[179:180], v[113:114], s[16:17]
	v_mul_f64 v[181:182], v[143:144], s[16:17]
	v_fma_f64 v[225:226], v[111:112], s[10:11], v[187:188]
	v_fma_f64 v[227:228], v[145:146], s[10:11], -v[189:190]
	v_fma_f64 v[187:188], v[111:112], s[10:11], -v[187:188]
	v_fma_f64 v[189:190], v[145:146], s[10:11], v[189:190]
	v_add_f64 v[185:186], v[221:222], v[185:186]
	v_mul_f64 v[203:204], v[117:118], s[28:29]
	v_mul_f64 v[207:208], v[153:154], s[28:29]
	v_fma_f64 v[229:230], v[115:116], s[0:1], v[191:192]
	v_add_f64 v[183:184], v[219:220], v[183:184]
	v_fma_f64 v[173:174], v[123:124], s[2:3], -v[173:174]
	v_add_f64 v[163:164], v[74:75], v[163:164]
	v_mul_f64 v[219:220], v[121:122], s[38:39]
	v_fma_f64 v[235:236], v[129:130], s[10:11], v[223:224]
	v_fma_f64 v[175:176], v[125:126], s[2:3], v[175:176]
	v_add_f64 v[165:166], v[72:73], v[165:166]
	v_fma_f64 v[223:224], v[129:130], s[10:11], -v[223:224]
	v_add_f64 v[177:178], v[211:212], v[177:178]
	v_add_f64 v[167:168], v[217:218], v[167:168]
	;; [unrolled: 1-line block ×4, first 2 shown]
	v_mul_f64 v[217:218], v[141:142], s[20:21]
	v_mul_f64 v[195:196], v[139:140], s[36:37]
	v_fma_f64 v[221:222], v[109:110], s[2:3], v[179:180]
	v_fma_f64 v[233:234], v[133:134], s[2:3], -v[181:182]
	v_fma_f64 v[179:180], v[109:110], s[2:3], -v[179:180]
	v_fma_f64 v[181:182], v[133:134], s[2:3], v[181:182]
	v_mul_f64 v[211:212], v[137:138], s[36:37]
	v_add_f64 v[185:186], v[231:232], v[185:186]
	v_fma_f64 v[237:238], v[111:112], s[22:23], v[203:204]
	v_fma_f64 v[239:240], v[145:146], s[22:23], -v[207:208]
	v_add_f64 v[183:184], v[229:230], v[183:184]
	v_fma_f64 v[199:200], v[151:152], s[26:27], v[199:200]
	v_add_f64 v[173:174], v[173:174], v[163:164]
	v_add_f64 v[106:107], v[74:75], v[106:107]
	;; [unrolled: 1-line block ×5, first 2 shown]
	v_mul_f64 v[193:194], v[131:132], s[28:29]
	v_add_f64 v[177:178], v[225:226], v[177:178]
	v_add_f64 v[167:168], v[227:228], v[167:168]
	;; [unrolled: 1-line block ×4, first 2 shown]
	v_fma_f64 v[187:188], v[149:150], s[26:27], -v[197:198]
	v_mul_f64 v[197:198], v[141:142], s[38:39]
	v_fma_f64 v[231:232], v[127:128], s[10:11], -v[217:218]
	v_mul_f64 v[189:190], v[139:140], s[8:9]
	v_fma_f64 v[229:230], v[123:124], s[24:25], v[195:196]
	v_fma_f64 v[217:218], v[127:128], s[10:11], v[217:218]
	v_fma_f64 v[195:196], v[123:124], s[24:25], -v[195:196]
	v_add_f64 v[223:224], v[74:75], v[223:224]
	s_mov_b32 s43, 0x3fedeba7
	s_mov_b32 s42, s20
	v_fma_f64 v[191:192], v[115:116], s[0:1], -v[191:192]
	v_add_f64 v[183:184], v[237:238], v[183:184]
	v_add_f64 v[185:186], v[239:240], v[185:186]
	v_fma_f64 v[209:210], v[147:148], s[0:1], v[209:210]
	v_mul_f64 v[237:238], v[135:136], s[42:43]
	v_add_f64 v[102:103], v[106:107], v[102:103]
	v_add_f64 v[175:176], v[199:200], v[175:176]
	v_mul_f64 v[199:200], v[131:132], s[42:43]
	v_add_f64 v[165:166], v[221:222], v[177:178]
	v_add_f64 v[163:164], v[233:234], v[167:168]
	;; [unrolled: 1-line block ×4, first 2 shown]
	v_fma_f64 v[171:172], v[129:130], s[2:3], v[219:220]
	v_mul_f64 v[177:178], v[137:138], s[8:9]
	v_fma_f64 v[179:180], v[127:128], s[2:3], -v[197:198]
	v_mul_f64 v[221:222], v[135:136], s[28:29]
	v_fma_f64 v[233:234], v[125:126], s[24:25], -v[211:212]
	v_add_f64 v[231:232], v[72:73], v[231:232]
	v_add_f64 v[173:174], v[187:188], v[173:174]
	;; [unrolled: 1-line block ×3, first 2 shown]
	v_fma_f64 v[211:212], v[125:126], s[24:25], v[211:212]
	v_add_f64 v[217:218], v[72:73], v[217:218]
	v_fma_f64 v[235:236], v[123:124], s[0:1], v[189:190]
	v_add_f64 v[100:101], v[104:105], v[100:101]
	v_mul_f64 v[181:182], v[119:120], s[38:39]
	v_fma_f64 v[187:188], v[149:150], s[22:23], v[193:194]
	v_mul_f64 v[245:246], v[155:156], s[38:39]
	v_fma_f64 v[106:107], v[149:150], s[22:23], -v[193:194]
	v_add_f64 v[193:194], v[195:196], v[223:224]
	v_fma_f64 v[203:204], v[111:112], s[22:23], -v[203:204]
	v_fma_f64 v[104:105], v[145:146], s[22:23], v[207:208]
	v_add_f64 v[175:176], v[209:210], v[175:176]
	v_mul_f64 v[209:210], v[119:120], s[28:29]
	v_add_f64 v[98:99], v[102:103], v[98:99]
	v_add_f64 v[171:172], v[74:75], v[171:172]
	v_fma_f64 v[239:240], v[125:126], s[0:1], -v[177:178]
	v_add_f64 v[179:180], v[72:73], v[179:180]
	v_fma_f64 v[247:248], v[151:152], s[22:23], -v[221:222]
	v_fma_f64 v[195:196], v[151:152], s[22:23], v[221:222]
	v_add_f64 v[231:232], v[233:234], v[231:232]
	v_add_f64 v[173:174], v[191:192], v[173:174]
	v_fma_f64 v[191:192], v[129:130], s[2:3], -v[219:220]
	v_fma_f64 v[219:220], v[151:152], s[10:11], -v[237:238]
	v_add_f64 v[207:208], v[211:212], v[217:218]
	v_fma_f64 v[211:212], v[149:150], s[10:11], v[199:200]
	v_mul_f64 v[217:218], v[155:156], s[28:29]
	v_add_f64 v[96:97], v[100:101], v[96:97]
	v_add_f64 v[187:188], v[187:188], v[229:230]
	v_mul_f64 v[229:230], v[153:154], s[40:41]
	v_fma_f64 v[233:234], v[147:148], s[2:3], -v[245:246]
	v_fma_f64 v[100:101], v[115:116], s[2:3], -v[181:182]
	v_add_f64 v[106:107], v[106:107], v[193:194]
	v_fma_f64 v[243:244], v[115:116], s[2:3], v[181:182]
	v_fma_f64 v[102:103], v[123:124], s[0:1], -v[189:190]
	v_fma_f64 v[189:190], v[147:148], s[2:3], v[245:246]
	v_mul_f64 v[193:194], v[117:118], s[34:35]
	v_add_f64 v[171:172], v[235:236], v[171:172]
	v_add_f64 v[90:91], v[98:99], v[90:91]
	;; [unrolled: 1-line block ×3, first 2 shown]
	v_mul_f64 v[241:242], v[117:118], s[40:41]
	v_fma_f64 v[98:99], v[149:150], s[10:11], -v[199:200]
	v_add_f64 v[231:232], v[247:248], v[231:232]
	v_add_f64 v[173:174], v[203:204], v[173:174]
	;; [unrolled: 1-line block ×3, first 2 shown]
	v_mul_f64 v[203:204], v[153:154], s[34:35]
	v_add_f64 v[191:192], v[195:196], v[207:208]
	v_fma_f64 v[195:196], v[115:116], s[22:23], v[209:210]
	v_fma_f64 v[207:208], v[147:148], s[22:23], -v[217:218]
	v_add_f64 v[88:89], v[96:97], v[88:89]
	v_mul_f64 v[221:222], v[113:114], s[30:31]
	v_mul_f64 v[235:236], v[143:144], s[30:31]
	v_add_f64 v[104:105], v[104:105], v[175:176]
	v_fma_f64 v[209:210], v[115:116], s[22:23], -v[209:210]
	v_add_f64 v[100:101], v[100:101], v[106:107]
	v_fma_f64 v[106:107], v[145:146], s[0:1], v[229:230]
	v_add_f64 v[187:188], v[243:244], v[187:188]
	v_mul_f64 v[201:202], v[113:114], s[20:21]
	v_mul_f64 v[205:206], v[143:144], s[20:21]
	v_add_f64 v[171:172], v[211:212], v[171:172]
	v_fma_f64 v[211:212], v[145:146], s[0:1], -v[229:230]
	v_add_f64 v[179:180], v[219:220], v[179:180]
	v_mul_f64 v[229:230], v[113:114], s[28:29]
	v_add_f64 v[90:91], v[90:91], v[94:95]
	v_add_f64 v[219:220], v[233:234], v[231:232]
	v_mul_f64 v[231:232], v[143:144], s[28:29]
	s_mov_b32 s29, 0xbfddbe06
	v_add_f64 v[102:103], v[102:103], v[181:182]
	v_add_f64 v[181:182], v[189:190], v[191:192]
	v_fma_f64 v[191:192], v[127:128], s[2:3], v[197:198]
	v_fma_f64 v[197:198], v[111:112], s[26:27], v[193:194]
	v_fma_f64 v[199:200], v[145:146], s[26:27], -v[203:204]
	v_add_f64 v[88:89], v[88:89], v[92:93]
	v_mul_f64 v[92:93], v[141:142], s[28:29]
	v_mul_f64 v[94:95], v[141:142], s[34:35]
	v_fma_f64 v[223:224], v[111:112], s[0:1], v[241:242]
	v_fma_f64 v[96:97], v[111:112], s[0:1], -v[241:242]
	v_fma_f64 v[141:142], v[125:126], s[0:1], v[177:178]
	v_fma_f64 v[175:176], v[109:110], s[26:27], v[221:222]
	v_mul_f64 v[189:190], v[113:114], s[18:19]
	v_mul_f64 v[113:114], v[113:114], s[8:9]
	v_add_f64 v[171:172], v[195:196], v[171:172]
	v_fma_f64 v[193:194], v[111:112], s[26:27], -v[193:194]
	v_add_f64 v[179:180], v[207:208], v[179:180]
	v_mul_f64 v[207:208], v[121:122], s[34:35]
	v_mul_f64 v[121:122], v[121:122], s[28:29]
	v_add_f64 v[211:212], v[211:212], v[219:220]
	v_add_f64 v[86:87], v[90:91], v[86:87]
	v_mul_f64 v[195:196], v[143:144], s[18:19]
	v_add_f64 v[98:99], v[98:99], v[102:103]
	v_fma_f64 v[102:103], v[109:110], s[26:27], -v[221:222]
	v_add_f64 v[177:178], v[72:73], v[191:192]
	v_mul_f64 v[221:222], v[137:138], s[20:21]
	v_mul_f64 v[137:138], v[137:138], s[34:35]
	v_add_f64 v[84:85], v[88:89], v[84:85]
	v_fma_f64 v[88:89], v[127:128], s[22:23], v[92:93]
	v_fma_f64 v[90:91], v[127:128], s[26:27], v[94:95]
	v_fma_f64 v[94:95], v[127:128], s[26:27], -v[94:95]
	v_fma_f64 v[92:93], v[127:128], s[22:23], -v[92:93]
	v_add_f64 v[187:188], v[223:224], v[187:188]
	v_fma_f64 v[223:224], v[133:134], s[26:27], -v[235:236]
	v_add_f64 v[96:97], v[96:97], v[100:101]
	v_fma_f64 v[100:101], v[133:134], s[26:27], v[235:236]
	v_add_f64 v[171:172], v[197:198], v[171:172]
	v_mul_f64 v[197:198], v[139:140], s[20:21]
	v_add_f64 v[179:180], v[199:200], v[179:180]
	v_fma_f64 v[219:220], v[129:130], s[26:27], -v[207:208]
	v_mul_f64 v[139:140], v[139:140], s[34:35]
	v_fma_f64 v[199:200], v[129:130], s[22:23], -v[121:122]
	v_fma_f64 v[207:208], v[129:130], s[26:27], v[207:208]
	v_fma_f64 v[121:122], v[129:130], s[22:23], v[121:122]
	v_mul_f64 v[129:130], v[131:132], s[8:9]
	v_mul_f64 v[131:132], v[131:132], s[38:39]
	v_add_f64 v[141:142], v[141:142], v[177:178]
	v_add_f64 v[82:83], v[86:87], v[82:83]
	;; [unrolled: 1-line block ×4, first 2 shown]
	v_fma_f64 v[209:210], v[147:148], s[22:23], v[217:218]
	v_fma_f64 v[217:218], v[151:152], s[10:11], v[237:238]
	v_mul_f64 v[127:128], v[135:136], s[8:9]
	v_mul_f64 v[135:136], v[135:136], s[38:39]
	v_fma_f64 v[237:238], v[125:126], s[26:27], v[137:138]
	v_add_f64 v[84:85], v[72:73], v[88:89]
	v_fma_f64 v[233:234], v[125:126], s[10:11], v[221:222]
	v_add_f64 v[86:87], v[72:73], v[90:91]
	v_add_f64 v[94:95], v[72:73], v[94:95]
	v_fma_f64 v[177:178], v[123:124], s[10:11], -v[197:198]
	v_fma_f64 v[90:91], v[123:124], s[10:11], v[197:198]
	v_add_f64 v[219:220], v[74:75], v[219:220]
	v_fma_f64 v[235:236], v[123:124], s[26:27], -v[139:140]
	v_add_f64 v[199:200], v[74:75], v[199:200]
	v_add_f64 v[197:198], v[74:75], v[207:208]
	v_fma_f64 v[207:208], v[125:126], s[10:11], -v[221:222]
	v_fma_f64 v[123:124], v[123:124], s[26:27], v[139:140]
	v_add_f64 v[74:75], v[74:75], v[121:122]
	v_fma_f64 v[121:122], v[125:126], s[26:27], -v[137:138]
	v_add_f64 v[72:73], v[72:73], v[92:93]
	v_mul_f64 v[88:89], v[119:120], s[36:37]
	v_fma_f64 v[125:126], v[149:150], s[0:1], -v[129:130]
	v_mul_f64 v[119:120], v[119:120], s[20:21]
	v_add_f64 v[78:79], v[82:83], v[78:79]
	v_add_f64 v[76:77], v[80:81], v[76:77]
	v_mul_f64 v[92:93], v[155:156], s[36:37]
	v_mul_f64 v[155:156], v[155:156], s[20:21]
	v_add_f64 v[80:81], v[237:238], v[84:85]
	v_fma_f64 v[139:140], v[151:152], s[0:1], v[127:128]
	v_add_f64 v[82:83], v[233:234], v[86:87]
	v_fma_f64 v[86:87], v[149:150], s[0:1], v[129:130]
	v_fma_f64 v[127:128], v[151:152], s[0:1], -v[127:128]
	v_fma_f64 v[129:130], v[149:150], s[2:3], v[131:132]
	v_add_f64 v[137:138], v[177:178], v[219:220]
	v_fma_f64 v[177:178], v[149:150], s[2:3], -v[131:132]
	v_add_f64 v[199:200], v[235:236], v[199:200]
	v_fma_f64 v[219:220], v[151:152], s[2:3], v[135:136]
	v_add_f64 v[90:91], v[90:91], v[197:198]
	v_add_f64 v[94:95], v[207:208], v[94:95]
	;; [unrolled: 1-line block ×3, first 2 shown]
	v_fma_f64 v[123:124], v[151:152], s[2:3], -v[135:136]
	v_add_f64 v[72:73], v[121:122], v[72:73]
	v_mul_f64 v[84:85], v[117:118], s[16:17]
	v_fma_f64 v[131:132], v[115:116], s[24:25], -v[88:89]
	v_mul_f64 v[117:118], v[117:118], s[18:19]
	v_fma_f64 v[149:150], v[115:116], s[10:11], -v[119:120]
	v_add_f64 v[14:15], v[78:79], v[14:15]
	v_add_f64 v[12:13], v[76:77], v[12:13]
	v_mul_f64 v[121:122], v[153:154], s[16:17]
	v_fma_f64 v[135:136], v[147:148], s[24:25], v[92:93]
	v_add_f64 v[106:107], v[106:107], v[181:182]
	v_add_f64 v[78:79], v[139:140], v[82:83]
	v_fma_f64 v[82:83], v[115:116], s[24:25], v[88:89]
	v_fma_f64 v[88:89], v[147:148], s[24:25], -v[92:93]
	v_fma_f64 v[92:93], v[115:116], s[10:11], v[119:120]
	v_add_f64 v[125:126], v[125:126], v[137:138]
	v_mul_f64 v[137:138], v[153:154], s[18:19]
	v_add_f64 v[151:152], v[177:178], v[199:200]
	v_fma_f64 v[153:154], v[147:148], s[10:11], v[155:156]
	v_add_f64 v[76:77], v[219:220], v[80:81]
	v_add_f64 v[80:81], v[217:218], v[141:142]
	;; [unrolled: 1-line block ×5, first 2 shown]
	v_fma_f64 v[94:95], v[147:148], s[10:11], -v[155:156]
	v_add_f64 v[72:73], v[123:124], v[72:73]
	v_fma_f64 v[129:130], v[111:112], s[24:25], -v[117:118]
	v_fma_f64 v[119:120], v[111:112], s[2:3], -v[84:85]
	v_add_f64 v[10:11], v[14:15], v[10:11]
	v_add_f64 v[8:9], v[12:13], v[8:9]
	v_mul_f64 v[127:128], v[143:144], s[8:9]
	v_fma_f64 v[115:116], v[145:146], s[26:27], v[203:204]
	v_fma_f64 v[225:226], v[109:110], s[10:11], v[201:202]
	v_add_f64 v[14:15], v[135:136], v[78:79]
	v_fma_f64 v[78:79], v[111:112], s[2:3], v[84:85]
	v_fma_f64 v[227:228], v[133:134], s[10:11], -v[205:206]
	v_fma_f64 v[201:202], v[109:110], s[10:11], -v[201:202]
	v_add_f64 v[123:124], v[131:132], v[125:126]
	v_fma_f64 v[139:140], v[145:146], s[24:25], v[137:138]
	v_add_f64 v[131:132], v[149:150], v[151:152]
	v_fma_f64 v[125:126], v[145:146], s[2:3], v[121:122]
	v_add_f64 v[12:13], v[153:154], v[76:77]
	v_add_f64 v[76:77], v[209:210], v[80:81]
	;; [unrolled: 1-line block ×3, first 2 shown]
	v_fma_f64 v[82:83], v[145:146], s[2:3], -v[121:122]
	v_add_f64 v[84:85], v[88:89], v[90:91]
	v_fma_f64 v[86:87], v[111:112], s[24:25], v[117:118]
	v_add_f64 v[74:75], v[92:93], v[74:75]
	v_fma_f64 v[88:89], v[145:146], s[24:25], -v[137:138]
	v_add_f64 v[72:73], v[94:95], v[72:73]
	v_add_f64 v[92:93], v[193:194], v[98:99]
	v_fma_f64 v[98:99], v[109:110], s[22:23], -v[229:230]
	v_fma_f64 v[117:118], v[133:134], s[22:23], v[231:232]
	v_fma_f64 v[90:91], v[109:110], s[24:25], -v[189:190]
	v_fma_f64 v[94:95], v[133:134], s[24:25], v[195:196]
	v_fma_f64 v[205:206], v[133:134], s[10:11], v[205:206]
	;; [unrolled: 1-line block ×3, first 2 shown]
	v_fma_f64 v[191:192], v[133:134], s[24:25], -v[195:196]
	v_fma_f64 v[137:138], v[133:134], s[22:23], -v[231:232]
	v_add_f64 v[111:112], v[119:120], v[123:124]
	v_fma_f64 v[119:120], v[109:110], s[0:1], -v[113:114]
	v_add_f64 v[121:122], v[129:130], v[131:132]
	v_add_f64 v[129:130], v[10:11], v[6:7]
	;; [unrolled: 1-line block ×3, first 2 shown]
	v_fma_f64 v[123:124], v[133:134], s[0:1], v[127:128]
	v_add_f64 v[12:13], v[139:140], v[12:13]
	v_add_f64 v[125:126], v[125:126], v[14:15]
	;; [unrolled: 1-line block ×3, first 2 shown]
	v_fma_f64 v[115:116], v[109:110], s[22:23], v[229:230]
	v_add_f64 v[135:136], v[78:79], v[80:81]
	v_add_f64 v[139:140], v[82:83], v[84:85]
	v_fma_f64 v[109:110], v[109:110], s[0:1], v[113:114]
	v_add_f64 v[113:114], v[86:87], v[74:75]
	v_fma_f64 v[127:128], v[133:134], s[0:1], -v[127:128]
	v_add_f64 v[133:134], v[88:89], v[72:73]
	v_add_f64 v[78:79], v[90:91], v[92:93]
	v_add_f64 v[74:75], v[102:103], v[96:97]
	v_add_f64 v[72:73], v[100:101], v[106:107]
	v_add_f64 v[10:11], v[201:202], v[173:174]
	v_add_f64 v[8:9], v[205:206], v[104:105]
	v_add_f64 v[6:7], v[225:226], v[183:184]
	v_add_f64 v[82:83], v[98:99], v[111:112]
	v_add_f64 v[4:5], v[227:228], v[185:186]
	v_add_f64 v[86:87], v[119:120], v[121:122]
	v_add_f64 v[2:3], v[129:130], v[2:3]
	v_add_f64 v[0:1], v[131:132], v[0:1]
	v_add_f64 v[14:15], v[175:176], v[187:188]
	v_add_f64 v[84:85], v[123:124], v[12:13]
	v_add_f64 v[80:81], v[117:118], v[125:126]
	v_add_f64 v[76:77], v[94:95], v[76:77]
	v_add_f64 v[12:13], v[223:224], v[211:212]
	v_add_f64 v[90:91], v[181:182], v[171:172]
	v_add_f64 v[88:89], v[191:192], v[179:180]
	v_add_f64 v[94:95], v[115:116], v[135:136]
	v_add_f64 v[92:93], v[137:138], v[139:140]
	v_add_f64 v[98:99], v[109:110], v[113:114]
	v_add_f64 v[96:97], v[127:128], v[133:134]
	v_and_b32_e32 v100, 0xffff, v216
	v_lshl_add_u32 v100, v100, 4, v215
	ds_write_b128 v100, v[0:3]
	ds_write_b128 v100, v[84:87] offset:16
	ds_write_b128 v100, v[80:83] offset:32
	ds_write_b128 v100, v[76:79] offset:48
	ds_write_b128 v100, v[72:75] offset:64
	ds_write_b128 v100, v[8:11] offset:80
	ds_write_b128 v100, v[167:170] offset:96
	ds_write_b128 v100, v[163:166] offset:112
	ds_write_b128 v100, v[4:7] offset:128
	ds_write_b128 v100, v[12:15] offset:144
	ds_write_b128 v100, v[88:91] offset:160
	ds_write_b128 v100, v[92:95] offset:176
	ds_write_b128 v100, v[96:99] offset:192
.LBB0_13:
	s_or_b32 exec_lo, exec_lo, s33
	s_waitcnt lgkmcnt(0)
	s_barrier
	buffer_gl0_inv
	ds_read_b128 v[0:3], v159 offset:1872
	ds_read_b128 v[4:7], v159 offset:3744
	;; [unrolled: 1-line block ×7, first 2 shown]
	s_mov_b32 s0, 0xe8584caa
	s_mov_b32 s1, 0xbfebb67a
	;; [unrolled: 1-line block ×10, first 2 shown]
	s_waitcnt lgkmcnt(6)
	v_mul_f64 v[84:85], v[30:31], v[2:3]
	s_waitcnt lgkmcnt(5)
	v_mul_f64 v[86:87], v[26:27], v[6:7]
	v_mul_f64 v[30:31], v[30:31], v[0:1]
	v_mul_f64 v[26:27], v[26:27], v[4:5]
	s_waitcnt lgkmcnt(4)
	v_mul_f64 v[88:89], v[22:23], v[10:11]
	s_waitcnt lgkmcnt(3)
	v_mul_f64 v[90:91], v[18:19], v[14:15]
	v_mul_f64 v[22:23], v[22:23], v[8:9]
	v_mul_f64 v[18:19], v[18:19], v[12:13]
	s_waitcnt lgkmcnt(2)
	v_mul_f64 v[92:93], v[38:39], v[74:75]
	s_waitcnt lgkmcnt(1)
	v_mul_f64 v[94:95], v[34:35], v[78:79]
	v_mul_f64 v[38:39], v[38:39], v[72:73]
	v_mul_f64 v[34:35], v[34:35], v[76:77]
	v_fma_f64 v[84:85], v[28:29], v[0:1], v[84:85]
	v_fma_f64 v[86:87], v[24:25], v[4:5], v[86:87]
	v_fma_f64 v[28:29], v[28:29], v[2:3], -v[30:31]
	v_fma_f64 v[24:25], v[24:25], v[6:7], -v[26:27]
	v_fma_f64 v[8:9], v[20:21], v[8:9], v[88:89]
	v_fma_f64 v[12:13], v[16:17], v[12:13], v[90:91]
	v_fma_f64 v[10:11], v[20:21], v[10:11], -v[22:23]
	v_fma_f64 v[14:15], v[16:17], v[14:15], -v[18:19]
	v_fma_f64 v[16:17], v[36:37], v[72:73], v[92:93]
	v_fma_f64 v[18:19], v[32:33], v[76:77], v[94:95]
	v_fma_f64 v[20:21], v[36:37], v[74:75], -v[38:39]
	v_fma_f64 v[22:23], v[32:33], v[78:79], -v[34:35]
	ds_read_b128 v[0:3], v159
	ds_read_b128 v[4:7], v159 offset:624
	s_waitcnt lgkmcnt(0)
	s_barrier
	buffer_gl0_inv
	v_add_f64 v[26:27], v[84:85], v[86:87]
	v_add_f64 v[30:31], v[28:29], v[24:25]
	v_add_f64 v[74:75], v[28:29], -v[24:25]
	v_add_f64 v[32:33], v[8:9], v[12:13]
	v_add_f64 v[94:95], v[8:9], -v[12:13]
	v_add_f64 v[34:35], v[10:11], v[14:15]
	v_add_f64 v[88:89], v[80:81], v[16:17]
	;; [unrolled: 1-line block ×8, first 2 shown]
	v_add_f64 v[84:85], v[84:85], -v[86:87]
	v_add_f64 v[90:91], v[82:83], v[20:21]
	v_add_f64 v[92:93], v[10:11], -v[14:15]
	v_add_f64 v[96:97], v[20:21], -v[22:23]
	v_fma_f64 v[26:27], v[26:27], -0.5, v[0:1]
	v_fma_f64 v[30:31], v[30:31], -0.5, v[2:3]
	;; [unrolled: 1-line block ×4, first 2 shown]
	v_add_f64 v[8:9], v[88:89], v[18:19]
	v_fma_f64 v[36:37], v[36:37], -0.5, v[80:81]
	v_add_f64 v[80:81], v[16:17], -v[18:19]
	v_fma_f64 v[38:39], v[38:39], -0.5, v[82:83]
	v_add_f64 v[0:1], v[72:73], v[86:87]
	v_add_f64 v[2:3], v[28:29], v[24:25]
	;; [unrolled: 1-line block ×5, first 2 shown]
	v_fma_f64 v[12:13], v[74:75], s[0:1], v[26:27]
	v_fma_f64 v[16:17], v[74:75], s[2:3], v[26:27]
	;; [unrolled: 1-line block ×12, first 2 shown]
	s_mov_b32 s2, 0xe8584cab
	ds_write_b128 v162, v[0:3]
	ds_write_b128 v162, v[12:15] offset:208
	ds_write_b128 v162, v[16:19] offset:416
	ds_write_b128 v161, v[4:7]
	ds_write_b128 v161, v[20:23] offset:208
	ds_write_b128 v161, v[24:27] offset:416
	;; [unrolled: 3-line block ×3, first 2 shown]
	s_waitcnt lgkmcnt(0)
	s_barrier
	buffer_gl0_inv
	ds_read_b128 v[0:3], v159 offset:624
	ds_read_b128 v[4:7], v159 offset:4992
	;; [unrolled: 1-line block ×8, first 2 shown]
	s_mov_b32 s0, s2
	s_waitcnt lgkmcnt(7)
	v_mul_f64 v[32:33], v[50:51], v[2:3]
	v_mul_f64 v[34:35], v[50:51], v[0:1]
	s_waitcnt lgkmcnt(6)
	v_mul_f64 v[36:37], v[58:59], v[6:7]
	v_mul_f64 v[38:39], v[58:59], v[4:5]
	s_waitcnt lgkmcnt(5)
	v_mul_f64 v[50:51], v[54:55], v[10:11]
	v_mul_f64 v[54:55], v[54:55], v[8:9]
	s_waitcnt lgkmcnt(4)
	v_mul_f64 v[58:59], v[70:71], v[14:15]
	v_mul_f64 v[70:71], v[70:71], v[12:13]
	s_waitcnt lgkmcnt(3)
	v_mul_f64 v[72:73], v[66:67], v[18:19]
	v_mul_f64 v[66:67], v[66:67], v[16:17]
	s_waitcnt lgkmcnt(2)
	v_mul_f64 v[74:75], v[62:63], v[22:23]
	v_mul_f64 v[62:63], v[62:63], v[20:21]
	v_fma_f64 v[32:33], v[48:49], v[0:1], v[32:33]
	v_fma_f64 v[34:35], v[48:49], v[2:3], -v[34:35]
	ds_read_b128 v[0:3], v159
	v_fma_f64 v[4:5], v[56:57], v[4:5], v[36:37]
	v_fma_f64 v[6:7], v[56:57], v[6:7], -v[38:39]
	v_fma_f64 v[8:9], v[52:53], v[8:9], v[50:51]
	v_fma_f64 v[10:11], v[52:53], v[10:11], -v[54:55]
	;; [unrolled: 2-line block ×5, first 2 shown]
	s_waitcnt lgkmcnt(2)
	v_mul_f64 v[36:37], v[46:47], v[26:27]
	v_mul_f64 v[38:39], v[46:47], v[24:25]
	s_waitcnt lgkmcnt(1)
	v_mul_f64 v[46:47], v[42:43], v[30:31]
	v_mul_f64 v[42:43], v[42:43], v[28:29]
	v_add_f64 v[48:49], v[32:33], -v[4:5]
	v_add_f64 v[50:51], v[34:35], -v[6:7]
	v_add_f64 v[4:5], v[32:33], v[4:5]
	v_add_f64 v[6:7], v[34:35], v[6:7]
	v_add_f64 v[32:33], v[8:9], v[12:13]
	v_add_f64 v[34:35], v[10:11], v[14:15]
	v_add_f64 v[52:53], v[8:9], -v[12:13]
	v_add_f64 v[54:55], v[10:11], -v[14:15]
	v_add_f64 v[56:57], v[16:17], v[20:21]
	v_add_f64 v[58:59], v[18:19], v[22:23]
	v_fma_f64 v[24:25], v[44:45], v[24:25], v[36:37]
	v_fma_f64 v[26:27], v[44:45], v[26:27], -v[38:39]
	v_fma_f64 v[28:29], v[40:41], v[28:29], v[46:47]
	v_fma_f64 v[30:31], v[40:41], v[30:31], -v[42:43]
	v_add_f64 v[16:17], v[16:17], -v[20:21]
	v_add_f64 v[18:19], v[18:19], -v[22:23]
	v_mul_f64 v[20:21], v[48:49], s[8:9]
	v_mul_f64 v[22:23], v[50:51], s[8:9]
	s_waitcnt lgkmcnt(0)
	v_fma_f64 v[36:37], v[4:5], s[16:17], v[0:1]
	v_fma_f64 v[38:39], v[6:7], s[16:17], v[2:3]
	s_mov_b32 s9, 0xbfe491b7
	v_fma_f64 v[40:41], v[32:33], s[16:17], v[0:1]
	v_fma_f64 v[42:43], v[34:35], s[16:17], v[2:3]
	v_mul_f64 v[44:45], v[52:53], s[10:11]
	v_mul_f64 v[46:47], v[54:55], s[10:11]
	v_fma_f64 v[60:61], v[56:57], s[16:17], v[0:1]
	v_fma_f64 v[62:63], v[58:59], s[16:17], v[2:3]
	v_mul_f64 v[64:65], v[54:55], s[8:9]
	v_mul_f64 v[66:67], v[52:53], s[8:9]
	v_add_f64 v[68:69], v[24:25], v[28:29]
	v_add_f64 v[70:71], v[26:27], v[30:31]
	;; [unrolled: 1-line block ×4, first 2 shown]
	s_mov_b32 s16, 0x7e0b738b
	s_mov_b32 s17, 0x3fc63a1a
	v_add_f64 v[24:25], v[24:25], -v[28:29]
	v_add_f64 v[26:27], v[26:27], -v[30:31]
	v_fma_f64 v[20:21], v[16:17], s[10:11], v[20:21]
	v_fma_f64 v[22:23], v[18:19], s[10:11], v[22:23]
	v_fma_f64 v[28:29], v[56:57], s[16:17], v[36:37]
	v_fma_f64 v[30:31], v[58:59], s[16:17], v[38:39]
	v_fma_f64 v[36:37], v[4:5], s[16:17], v[40:41]
	v_fma_f64 v[38:39], v[6:7], s[16:17], v[42:43]
	v_fma_f64 v[40:41], v[16:17], s[8:9], -v[44:45]
	v_fma_f64 v[42:43], v[18:19], s[8:9], -v[46:47]
	v_fma_f64 v[44:45], v[32:33], s[16:17], v[60:61]
	v_fma_f64 v[46:47], v[34:35], s[16:17], v[62:63]
	;; [unrolled: 1-line block ×4, first 2 shown]
	v_add_f64 v[64:65], v[52:53], v[48:49]
	v_add_f64 v[66:67], v[54:55], v[50:51]
	;; [unrolled: 1-line block ×8, first 2 shown]
	s_mov_b32 s8, 0x748a0bf8
	v_fma_f64 v[20:21], v[24:25], s[2:3], v[20:21]
	v_fma_f64 v[22:23], v[26:27], s[2:3], v[22:23]
	v_fma_f64 v[28:29], v[68:69], -0.5, v[28:29]
	v_fma_f64 v[30:31], v[70:71], -0.5, v[30:31]
	s_mov_b32 s10, 0x42522d1b
	v_fma_f64 v[36:37], v[68:69], -0.5, v[36:37]
	v_fma_f64 v[38:39], v[70:71], -0.5, v[38:39]
	v_fma_f64 v[40:41], v[24:25], s[2:3], v[40:41]
	v_fma_f64 v[42:43], v[26:27], s[2:3], v[42:43]
	v_fma_f64 v[44:45], v[68:69], -0.5, v[44:45]
	v_fma_f64 v[46:47], v[70:71], -0.5, v[46:47]
	v_fma_f64 v[26:27], v[26:27], s[0:1], v[60:61]
	v_fma_f64 v[24:25], v[24:25], s[0:1], v[62:63]
	s_mov_b32 s9, 0x3fd5e3a8
	s_mov_b32 s11, 0xbfee11f6
	v_add_f64 v[60:61], v[64:65], -v[16:17]
	v_add_f64 v[62:63], v[66:67], -v[18:19]
	v_add_f64 v[8:9], v[8:9], v[72:73]
	v_add_f64 v[10:11], v[10:11], v[74:75]
	v_fma_f64 v[64:65], v[80:81], -0.5, v[76:77]
	v_fma_f64 v[66:67], v[82:83], -0.5, v[78:79]
	v_fma_f64 v[52:53], v[52:53], s[8:9], v[20:21]
	v_fma_f64 v[54:55], v[54:55], s[8:9], v[22:23]
	;; [unrolled: 1-line block ×12, first 2 shown]
	v_mul_f64 v[24:25], v[60:61], s[2:3]
	v_mul_f64 v[26:27], v[62:63], s[2:3]
	v_add_f64 v[44:45], v[12:13], v[8:9]
	v_add_f64 v[46:47], v[14:15], v[10:11]
	v_fma_f64 v[4:5], v[62:63], s[0:1], v[64:65]
	v_fma_f64 v[6:7], v[60:61], s[2:3], v[66:67]
	v_add_f64 v[8:9], v[20:21], -v[54:55]
	v_add_f64 v[10:11], v[52:53], v[22:23]
	v_add_f64 v[12:13], v[36:37], -v[34:35]
	v_add_f64 v[14:15], v[32:33], v[38:39]
	;; [unrolled: 2-line block ×3, first 2 shown]
	v_add_f64 v[0:1], v[0:1], v[44:45]
	v_add_f64 v[2:3], v[2:3], v[46:47]
	v_fma_f64 v[20:21], v[26:27], 2.0, v[4:5]
	v_fma_f64 v[22:23], v[24:25], -2.0, v[6:7]
	v_fma_f64 v[24:25], v[54:55], 2.0, v[8:9]
	v_fma_f64 v[26:27], v[52:53], -2.0, v[10:11]
	;; [unrolled: 2-line block ×4, first 2 shown]
	ds_write_b128 v158, v[0:3]
	ds_write_b128 v157, v[8:11] offset:624
	ds_write_b128 v157, v[4:7] offset:1872
	;; [unrolled: 1-line block ×8, first 2 shown]
	s_waitcnt lgkmcnt(0)
	s_barrier
	buffer_gl0_inv
	s_and_b32 exec_lo, exec_lo, vcc_lo
	s_cbranch_execz .LBB0_15
; %bb.14:
	v_add_co_u32 v32, s0, s14, v214
	v_add_co_ci_u32_e64 v33, null, s15, 0, s0
	s_clause 0x2
	global_load_dwordx4 v[0:3], v214, s[14:15]
	global_load_dwordx4 v[4:7], v214, s[14:15] offset:432
	global_load_dwordx4 v[8:11], v214, s[14:15] offset:864
	v_add_co_u32 v36, vcc_lo, 0x800, v32
	v_add_co_ci_u32_e32 v37, vcc_lo, 0, v33, vcc_lo
	v_add_co_u32 v96, vcc_lo, 0x1000, v32
	s_clause 0x4
	global_load_dwordx4 v[12:15], v214, s[14:15] offset:1296
	global_load_dwordx4 v[16:19], v214, s[14:15] offset:1728
	global_load_dwordx4 v[20:23], v[36:37], off offset:112
	global_load_dwordx4 v[24:27], v[36:37], off offset:544
	global_load_dwordx4 v[28:31], v[36:37], off offset:976
	v_add_co_ci_u32_e32 v97, vcc_lo, 0, v33, vcc_lo
	s_clause 0x3
	global_load_dwordx4 v[32:35], v[36:37], off offset:1408
	global_load_dwordx4 v[36:39], v[36:37], off offset:1840
	;; [unrolled: 1-line block ×4, first 2 shown]
	v_mad_u64_u32 v[48:49], null, s6, v108, 0
	v_mad_u64_u32 v[50:51], null, s4, v213, 0
	s_mul_i32 s0, s5, 0x1b0
	s_mul_hi_u32 s1, s4, 0x1b0
	s_mul_i32 s2, s4, 0x1b0
	s_add_i32 s3, s1, s0
	s_mov_b32 s0, 0xc201756d
	s_mov_b32 s1, 0x3f6756ca
	v_mad_u64_u32 v[52:53], null, s7, v108, v[49:50]
	v_mad_u64_u32 v[53:54], null, s5, v213, v[51:52]
	v_mov_b32_e32 v49, v52
	v_lshlrev_b64 v[48:49], 4, v[48:49]
	v_mov_b32_e32 v51, v53
	v_lshlrev_b64 v[50:51], 4, v[50:51]
	v_add_co_u32 v48, vcc_lo, s12, v48
	v_add_co_ci_u32_e32 v49, vcc_lo, s13, v49, vcc_lo
	v_add_co_u32 v98, vcc_lo, v48, v50
	v_add_co_ci_u32_e32 v99, vcc_lo, v49, v51, vcc_lo
	ds_read_b128 v[48:51], v158
	ds_read_b128 v[52:55], v157 offset:432
	ds_read_b128 v[56:59], v157 offset:864
	;; [unrolled: 1-line block ×11, first 2 shown]
	v_add_co_u32 v100, vcc_lo, v98, s2
	v_add_co_ci_u32_e32 v101, vcc_lo, s3, v99, vcc_lo
	v_add_co_u32 v102, vcc_lo, v100, s2
	v_add_co_ci_u32_e32 v103, vcc_lo, s3, v101, vcc_lo
	;; [unrolled: 2-line block ×9, first 2 shown]
	s_waitcnt vmcnt(11) lgkmcnt(11)
	v_mul_f64 v[118:119], v[50:51], v[2:3]
	v_mul_f64 v[2:3], v[48:49], v[2:3]
	s_waitcnt vmcnt(10) lgkmcnt(10)
	v_mul_f64 v[120:121], v[54:55], v[6:7]
	v_mul_f64 v[6:7], v[52:53], v[6:7]
	;; [unrolled: 3-line block ×12, first 2 shown]
	v_fma_f64 v[48:49], v[48:49], v[0:1], v[118:119]
	v_fma_f64 v[2:3], v[0:1], v[50:51], -v[2:3]
	v_fma_f64 v[50:51], v[52:53], v[4:5], v[120:121]
	v_fma_f64 v[6:7], v[4:5], v[54:55], -v[6:7]
	v_fma_f64 v[52:53], v[56:57], v[8:9], v[122:123]
	v_fma_f64 v[10:11], v[8:9], v[58:59], -v[10:11]
	v_fma_f64 v[54:55], v[60:61], v[12:13], v[124:125]
	v_fma_f64 v[14:15], v[12:13], v[62:63], -v[14:15]
	v_fma_f64 v[56:57], v[64:65], v[16:17], v[126:127]
	v_fma_f64 v[18:19], v[16:17], v[66:67], -v[18:19]
	v_fma_f64 v[58:59], v[68:69], v[20:21], v[128:129]
	v_fma_f64 v[22:23], v[20:21], v[70:71], -v[22:23]
	v_fma_f64 v[60:61], v[72:73], v[24:25], v[130:131]
	v_fma_f64 v[26:27], v[24:25], v[74:75], -v[26:27]
	v_fma_f64 v[62:63], v[76:77], v[28:29], v[132:133]
	v_fma_f64 v[30:31], v[28:29], v[78:79], -v[30:31]
	v_fma_f64 v[64:65], v[80:81], v[32:33], v[134:135]
	v_fma_f64 v[34:35], v[32:33], v[82:83], -v[34:35]
	v_fma_f64 v[66:67], v[84:85], v[36:37], v[136:137]
	v_fma_f64 v[38:39], v[36:37], v[86:87], -v[38:39]
	v_fma_f64 v[68:69], v[88:89], v[40:41], v[138:139]
	v_fma_f64 v[42:43], v[40:41], v[90:91], -v[42:43]
	v_fma_f64 v[70:71], v[92:93], v[44:45], v[140:141]
	v_fma_f64 v[46:47], v[44:45], v[94:95], -v[46:47]
	v_mul_f64 v[0:1], v[48:49], s[0:1]
	v_mul_f64 v[2:3], v[2:3], s[0:1]
	;; [unrolled: 1-line block ×24, first 2 shown]
	v_add_co_u32 v48, vcc_lo, v116, s2
	v_add_co_ci_u32_e32 v49, vcc_lo, s3, v117, vcc_lo
	v_add_co_u32 v50, vcc_lo, v48, s2
	v_add_co_ci_u32_e32 v51, vcc_lo, s3, v49, vcc_lo
	global_store_dwordx4 v[98:99], v[0:3], off
	global_store_dwordx4 v[100:101], v[4:7], off
	;; [unrolled: 1-line block ×12, first 2 shown]
	global_load_dwordx4 v[0:3], v[96:97], off offset:1088
	ds_read_b128 v[4:7], v157 offset:5184
	s_waitcnt vmcnt(0) lgkmcnt(0)
	v_mul_f64 v[8:9], v[6:7], v[2:3]
	v_mul_f64 v[2:3], v[4:5], v[2:3]
	v_fma_f64 v[4:5], v[4:5], v[0:1], v[8:9]
	v_fma_f64 v[2:3], v[0:1], v[6:7], -v[2:3]
	v_mul_f64 v[0:1], v[4:5], s[0:1]
	v_mul_f64 v[2:3], v[2:3], s[0:1]
	v_add_co_u32 v4, vcc_lo, v50, s2
	v_add_co_ci_u32_e32 v5, vcc_lo, s3, v51, vcc_lo
	global_store_dwordx4 v[4:5], v[0:3], off
.LBB0_15:
	s_endpgm
	.section	.rodata,"a",@progbits
	.p2align	6, 0x0
	.amdhsa_kernel bluestein_single_fwd_len351_dim1_dp_op_CI_CI
		.amdhsa_group_segment_fixed_size 16848
		.amdhsa_private_segment_fixed_size 0
		.amdhsa_kernarg_size 104
		.amdhsa_user_sgpr_count 6
		.amdhsa_user_sgpr_private_segment_buffer 1
		.amdhsa_user_sgpr_dispatch_ptr 0
		.amdhsa_user_sgpr_queue_ptr 0
		.amdhsa_user_sgpr_kernarg_segment_ptr 1
		.amdhsa_user_sgpr_dispatch_id 0
		.amdhsa_user_sgpr_flat_scratch_init 0
		.amdhsa_user_sgpr_private_segment_size 0
		.amdhsa_wavefront_size32 1
		.amdhsa_uses_dynamic_stack 0
		.amdhsa_system_sgpr_private_segment_wavefront_offset 0
		.amdhsa_system_sgpr_workgroup_id_x 1
		.amdhsa_system_sgpr_workgroup_id_y 0
		.amdhsa_system_sgpr_workgroup_id_z 0
		.amdhsa_system_sgpr_workgroup_info 0
		.amdhsa_system_vgpr_workitem_id 0
		.amdhsa_next_free_vgpr 249
		.amdhsa_next_free_sgpr 46
		.amdhsa_reserve_vcc 1
		.amdhsa_reserve_flat_scratch 0
		.amdhsa_float_round_mode_32 0
		.amdhsa_float_round_mode_16_64 0
		.amdhsa_float_denorm_mode_32 3
		.amdhsa_float_denorm_mode_16_64 3
		.amdhsa_dx10_clamp 1
		.amdhsa_ieee_mode 1
		.amdhsa_fp16_overflow 0
		.amdhsa_workgroup_processor_mode 1
		.amdhsa_memory_ordered 1
		.amdhsa_forward_progress 0
		.amdhsa_shared_vgpr_count 0
		.amdhsa_exception_fp_ieee_invalid_op 0
		.amdhsa_exception_fp_denorm_src 0
		.amdhsa_exception_fp_ieee_div_zero 0
		.amdhsa_exception_fp_ieee_overflow 0
		.amdhsa_exception_fp_ieee_underflow 0
		.amdhsa_exception_fp_ieee_inexact 0
		.amdhsa_exception_int_div_zero 0
	.end_amdhsa_kernel
	.text
.Lfunc_end0:
	.size	bluestein_single_fwd_len351_dim1_dp_op_CI_CI, .Lfunc_end0-bluestein_single_fwd_len351_dim1_dp_op_CI_CI
                                        ; -- End function
	.section	.AMDGPU.csdata,"",@progbits
; Kernel info:
; codeLenInByte = 16356
; NumSgprs: 48
; NumVgprs: 249
; ScratchSize: 0
; MemoryBound: 0
; FloatMode: 240
; IeeeMode: 1
; LDSByteSize: 16848 bytes/workgroup (compile time only)
; SGPRBlocks: 5
; VGPRBlocks: 31
; NumSGPRsForWavesPerEU: 48
; NumVGPRsForWavesPerEU: 249
; Occupancy: 4
; WaveLimiterHint : 1
; COMPUTE_PGM_RSRC2:SCRATCH_EN: 0
; COMPUTE_PGM_RSRC2:USER_SGPR: 6
; COMPUTE_PGM_RSRC2:TRAP_HANDLER: 0
; COMPUTE_PGM_RSRC2:TGID_X_EN: 1
; COMPUTE_PGM_RSRC2:TGID_Y_EN: 0
; COMPUTE_PGM_RSRC2:TGID_Z_EN: 0
; COMPUTE_PGM_RSRC2:TIDIG_COMP_CNT: 0
	.text
	.p2alignl 6, 3214868480
	.fill 48, 4, 3214868480
	.type	__hip_cuid_105cf82bcc96c977,@object ; @__hip_cuid_105cf82bcc96c977
	.section	.bss,"aw",@nobits
	.globl	__hip_cuid_105cf82bcc96c977
__hip_cuid_105cf82bcc96c977:
	.byte	0                               ; 0x0
	.size	__hip_cuid_105cf82bcc96c977, 1

	.ident	"AMD clang version 19.0.0git (https://github.com/RadeonOpenCompute/llvm-project roc-6.4.0 25133 c7fe45cf4b819c5991fe208aaa96edf142730f1d)"
	.section	".note.GNU-stack","",@progbits
	.addrsig
	.addrsig_sym __hip_cuid_105cf82bcc96c977
	.amdgpu_metadata
---
amdhsa.kernels:
  - .args:
      - .actual_access:  read_only
        .address_space:  global
        .offset:         0
        .size:           8
        .value_kind:     global_buffer
      - .actual_access:  read_only
        .address_space:  global
        .offset:         8
        .size:           8
        .value_kind:     global_buffer
      - .actual_access:  read_only
        .address_space:  global
        .offset:         16
        .size:           8
        .value_kind:     global_buffer
      - .actual_access:  read_only
        .address_space:  global
        .offset:         24
        .size:           8
        .value_kind:     global_buffer
      - .actual_access:  read_only
        .address_space:  global
        .offset:         32
        .size:           8
        .value_kind:     global_buffer
      - .offset:         40
        .size:           8
        .value_kind:     by_value
      - .address_space:  global
        .offset:         48
        .size:           8
        .value_kind:     global_buffer
      - .address_space:  global
        .offset:         56
        .size:           8
        .value_kind:     global_buffer
      - .address_space:  global
        .offset:         64
        .size:           8
        .value_kind:     global_buffer
      - .address_space:  global
        .offset:         72
        .size:           8
        .value_kind:     global_buffer
      - .offset:         80
        .size:           4
        .value_kind:     by_value
      - .address_space:  global
        .offset:         88
        .size:           8
        .value_kind:     global_buffer
      - .address_space:  global
        .offset:         96
        .size:           8
        .value_kind:     global_buffer
    .group_segment_fixed_size: 16848
    .kernarg_segment_align: 8
    .kernarg_segment_size: 104
    .language:       OpenCL C
    .language_version:
      - 2
      - 0
    .max_flat_workgroup_size: 117
    .name:           bluestein_single_fwd_len351_dim1_dp_op_CI_CI
    .private_segment_fixed_size: 0
    .sgpr_count:     48
    .sgpr_spill_count: 0
    .symbol:         bluestein_single_fwd_len351_dim1_dp_op_CI_CI.kd
    .uniform_work_group_size: 1
    .uses_dynamic_stack: false
    .vgpr_count:     249
    .vgpr_spill_count: 0
    .wavefront_size: 32
    .workgroup_processor_mode: 1
amdhsa.target:   amdgcn-amd-amdhsa--gfx1030
amdhsa.version:
  - 1
  - 2
...

	.end_amdgpu_metadata
